;; amdgpu-corpus repo=vllm-project/vllm kind=compiled arch=gfx1100 opt=O3
	.text
	.amdgcn_target "amdgcn-amd-amdhsa--gfx1100"
	.amdhsa_code_object_version 6
	.section	.text._ZN4vllm21deepseek_v4_fused_ops47fusedDeepseekV4QNormRopeKVRopeQuantInsertKernelIN3c104HalfELi8EEEvPKT_PS4_S6_PhPKlSA_PKffiiiii,"axG",@progbits,_ZN4vllm21deepseek_v4_fused_ops47fusedDeepseekV4QNormRopeKVRopeQuantInsertKernelIN3c104HalfELi8EEEvPKT_PS4_S6_PhPKlSA_PKffiiiii,comdat
	.protected	_ZN4vllm21deepseek_v4_fused_ops47fusedDeepseekV4QNormRopeKVRopeQuantInsertKernelIN3c104HalfELi8EEEvPKT_PS4_S6_PhPKlSA_PKffiiiii ; -- Begin function _ZN4vllm21deepseek_v4_fused_ops47fusedDeepseekV4QNormRopeKVRopeQuantInsertKernelIN3c104HalfELi8EEEvPKT_PS4_S6_PhPKlSA_PKffiiiii
	.globl	_ZN4vllm21deepseek_v4_fused_ops47fusedDeepseekV4QNormRopeKVRopeQuantInsertKernelIN3c104HalfELi8EEEvPKT_PS4_S6_PhPKlSA_PKffiiiii
	.p2align	8
	.type	_ZN4vllm21deepseek_v4_fused_ops47fusedDeepseekV4QNormRopeKVRopeQuantInsertKernelIN3c104HalfELi8EEEvPKT_PS4_S6_PhPKlSA_PKffiiiii,@function
_ZN4vllm21deepseek_v4_fused_ops47fusedDeepseekV4QNormRopeKVRopeQuantInsertKernelIN3c104HalfELi8EEEvPKT_PS4_S6_PhPKlSA_PKffiiiii: ; @_ZN4vllm21deepseek_v4_fused_ops47fusedDeepseekV4QNormRopeKVRopeQuantInsertKernelIN3c104HalfELi8EEEvPKT_PS4_S6_PhPKlSA_PKffiiiii
; %bb.0:
	s_clause 0x1
	s_load_b32 s2, s[0:1], 0x5c
	s_load_b128 s[8:11], s[0:1], 0x38
	v_lshrrev_b32_e32 v3, 5, v0
	s_waitcnt lgkmcnt(0)
	s_bfe_u32 s2, s2, 0xb0005
	s_delay_alu instid0(VALU_DEP_1) | instid1(SALU_CYCLE_1)
	v_mad_u64_u32 v[1:2], null, s15, s2, v[3:4]
	s_mov_b32 s2, exec_lo
	s_delay_alu instid0(VALU_DEP_1) | instskip(NEXT) | instid1(VALU_DEP_1)
	v_mul_hi_i32 v2, 0x38e38e39, v1
	v_lshrrev_b32_e32 v3, 31, v2
	v_ashrrev_i32_e32 v2, 1, v2
	s_delay_alu instid0(VALU_DEP_1) | instskip(NEXT) | instid1(VALU_DEP_1)
	v_add_nc_u32_e32 v33, v2, v3
	v_cmpx_gt_i32_e64 s9, v33
	s_cbranch_execz .LBB0_18
; %bb.1:
	s_load_b64 s[14:15], s[0:1], 0x48
	v_lshl_add_u32 v2, v33, 3, v33
	v_cmp_gt_i32_e64 s3, s10, v33
	s_delay_alu instid0(VALU_DEP_2) | instskip(NEXT) | instid1(VALU_DEP_1)
	v_sub_nc_u32_e32 v35, v1, v2
	v_cmp_ne_u32_e64 s2, 8, v35
	v_cmp_eq_u32_e32 vcc_lo, 8, v35
	s_delay_alu instid0(VALU_DEP_2) | instskip(NEXT) | instid1(SALU_CYCLE_1)
	s_or_b32 s3, s2, s3
	s_and_b32 exec_lo, exec_lo, s3
	s_cbranch_execz .LBB0_18
; %bb.2:
	s_clause 0x2
	s_load_b64 s[12:13], s[0:1], 0x8
	s_load_b128 s[4:7], s[0:1], 0x20
	s_load_b64 s[16:17], s[0:1], 0x30
	v_and_b32_e32 v38, 31, v0
	v_cmp_gt_i32_e64 s3, s11, v35
	v_ashrrev_i32_e32 v34, 31, v33
	s_xor_b32 s9, s2, -1
                                        ; implicit-def: $vgpr7
                                        ; implicit-def: $vgpr15
	s_delay_alu instid0(VALU_DEP_3) | instskip(NEXT) | instid1(VALU_DEP_3)
	v_lshlrev_b32_e32 v37, 4, v38
	s_or_b32 s9, s9, s3
	s_delay_alu instid0(SALU_CYCLE_1)
	s_and_saveexec_b32 s10, s9
	s_cbranch_execz .LBB0_8
; %bb.3:
                                        ; implicit-def: $vgpr1_vgpr2
	s_and_saveexec_b32 s3, vcc_lo
	s_delay_alu instid0(SALU_CYCLE_1)
	s_xor_b32 s18, exec_lo, s3
	s_cbranch_execz .LBB0_5
; %bb.4:
	s_load_b64 s[20:21], s[0:1], 0x10
	v_lshlrev_b64 v[1:2], 10, v[33:34]
	v_lshlrev_b32_e32 v3, 1, v37
	s_waitcnt lgkmcnt(0)
	s_delay_alu instid0(VALU_DEP_2) | instskip(NEXT) | instid1(VALU_DEP_1)
	v_add_co_u32 v1, s3, s20, v1
	v_add_co_ci_u32_e64 v2, s3, s21, v2, s3
	s_delay_alu instid0(VALU_DEP_2) | instskip(NEXT) | instid1(VALU_DEP_1)
	v_add_co_u32 v1, s3, v1, v3
	v_add_co_ci_u32_e64 v2, s3, 0, v2, s3
.LBB0_5:
	s_and_not1_saveexec_b32 s18, s18
	s_cbranch_execz .LBB0_7
; %bb.6:
	v_ashrrev_i32_e32 v36, 31, v35
	s_load_b64 s[20:21], s[0:1], 0x0
	s_delay_alu instid0(VALU_DEP_1) | instskip(NEXT) | instid1(VALU_DEP_1)
	v_mad_i64_i32 v[1:2], null, v33, s11, v[35:36]
	v_lshlrev_b64 v[1:2], 10, v[1:2]
	s_delay_alu instid0(VALU_DEP_1) | instskip(SKIP_1) | instid1(VALU_DEP_1)
	v_lshl_or_b32 v1, v37, 1, v1
	s_waitcnt lgkmcnt(0)
	v_add_co_u32 v1, s3, s20, v1
	s_delay_alu instid0(VALU_DEP_1)
	v_add_co_ci_u32_e64 v2, s3, s21, v2, s3
.LBB0_7:
	s_or_b32 exec_lo, exec_lo, s18
	s_clause 0x1
	global_load_b128 v[12:15], v[1:2], off offset:16
	global_load_b128 v[4:7], v[1:2], off
.LBB0_8:
	s_or_b32 exec_lo, exec_lo, s10
	s_load_b64 s[10:11], s[0:1], 0x18
	s_and_saveexec_b32 s0, s9
	s_delay_alu instid0(SALU_CYCLE_1)
	s_xor_b32 s9, exec_lo, s0
	s_cbranch_execz .LBB0_16
; %bb.9:
	s_waitcnt vmcnt(0)
	v_lshrrev_b32_e32 v8, 16, v5
	v_lshrrev_b32_e32 v9, 16, v6
	;; [unrolled: 1-line block ×3, first 2 shown]
	v_cvt_f32_f16_e32 v1, v4
	v_cvt_f32_f16_e32 v3, v5
	;; [unrolled: 1-line block ×3, first 2 shown]
	v_lshrrev_b32_e32 v8, 16, v7
	v_cvt_f32_f16_e32 v5, v6
	v_cvt_f32_f16_e32 v6, v9
	v_lshrrev_b32_e32 v10, 16, v12
	v_cvt_f32_f16_e32 v9, v12
	v_lshrrev_b32_e32 v12, 16, v13
	v_lshrrev_b32_e32 v16, 16, v14
	;; [unrolled: 1-line block ×3, first 2 shown]
	v_cvt_f32_f16_e32 v2, v2
	v_cvt_f32_f16_e32 v7, v7
	;; [unrolled: 1-line block ×10, first 2 shown]
	s_and_saveexec_b32 s1, s2
	s_cbranch_execz .LBB0_11
; %bb.10:
	v_mbcnt_lo_u32_b32 v18, -1, 0
	s_delay_alu instid0(VALU_DEP_1) | instskip(SKIP_1) | instid1(VALU_DEP_2)
	v_xor_b32_e32 v19, 16, v18
	v_xor_b32_e32 v20, 8, v18
	v_cmp_gt_i32_e64 s0, 32, v19
	s_delay_alu instid0(VALU_DEP_1) | instskip(NEXT) | instid1(VALU_DEP_3)
	v_cndmask_b32_e64 v19, v18, v19, s0
	v_cmp_gt_i32_e64 s0, 32, v20
	s_delay_alu instid0(VALU_DEP_2) | instskip(NEXT) | instid1(VALU_DEP_2)
	v_lshlrev_b32_e32 v19, 2, v19
	v_cndmask_b32_e64 v20, v18, v20, s0
	s_delay_alu instid0(VALU_DEP_1) | instskip(NEXT) | instid1(VALU_DEP_1)
	v_dual_mul_f32 v17, v2, v2 :: v_dual_lshlrev_b32 v20, 2, v20
	v_fmac_f32_e32 v17, v1, v1
	s_delay_alu instid0(VALU_DEP_1) | instskip(NEXT) | instid1(VALU_DEP_1)
	v_fmac_f32_e32 v17, v3, v3
	v_fmac_f32_e32 v17, v4, v4
	s_delay_alu instid0(VALU_DEP_1) | instskip(NEXT) | instid1(VALU_DEP_1)
	v_fmac_f32_e32 v17, v5, v5
	;; [unrolled: 3-line block ×7, first 2 shown]
	v_fmac_f32_e32 v17, v16, v16
	ds_bpermute_b32 v19, v19, v17
	s_waitcnt lgkmcnt(0)
	v_add_f32_e32 v17, v17, v19
	ds_bpermute_b32 v19, v20, v17
	v_xor_b32_e32 v20, 4, v18
	s_delay_alu instid0(VALU_DEP_1) | instskip(NEXT) | instid1(VALU_DEP_1)
	v_cmp_gt_i32_e64 s0, 32, v20
	v_cndmask_b32_e64 v20, v18, v20, s0
	s_waitcnt lgkmcnt(0)
	s_delay_alu instid0(VALU_DEP_1) | instskip(SKIP_2) | instid1(VALU_DEP_1)
	v_dual_add_f32 v17, v17, v19 :: v_dual_lshlrev_b32 v20, 2, v20
	ds_bpermute_b32 v19, v20, v17
	v_xor_b32_e32 v20, 2, v18
	v_cmp_gt_i32_e64 s0, 32, v20
	s_delay_alu instid0(VALU_DEP_1) | instskip(SKIP_1) | instid1(VALU_DEP_1)
	v_cndmask_b32_e64 v20, v18, v20, s0
	s_waitcnt lgkmcnt(0)
	v_dual_add_f32 v17, v17, v19 :: v_dual_lshlrev_b32 v20, 2, v20
	ds_bpermute_b32 v19, v20, v17
	v_xor_b32_e32 v20, 1, v18
	s_delay_alu instid0(VALU_DEP_1) | instskip(NEXT) | instid1(VALU_DEP_1)
	v_cmp_gt_i32_e64 s0, 32, v20
	v_cndmask_b32_e64 v18, v18, v20, s0
	s_waitcnt lgkmcnt(0)
	s_delay_alu instid0(VALU_DEP_1) | instskip(SKIP_4) | instid1(VALU_DEP_1)
	v_dual_add_f32 v17, v17, v19 :: v_dual_lshlrev_b32 v18, 2, v18
	v_mov_b32_e32 v19, s8
	ds_bpermute_b32 v18, v18, v17
	s_waitcnt lgkmcnt(0)
	v_add_f32_e32 v17, v17, v18
	v_fmamk_f32 v17, v17, 0x3b000000, v19
	s_delay_alu instid0(VALU_DEP_1) | instskip(SKIP_1) | instid1(VALU_DEP_1)
	v_mul_f32_e32 v18, 0x4b800000, v17
	v_cmp_gt_f32_e64 s0, 0x800000, v17
	v_cndmask_b32_e64 v17, v17, v18, s0
	s_delay_alu instid0(VALU_DEP_1) | instskip(SKIP_2) | instid1(VALU_DEP_1)
	v_rsq_f32_e32 v17, v17
	s_waitcnt_depctr 0xfff
	v_mul_f32_e32 v18, 0x45800000, v17
	v_cndmask_b32_e64 v17, v17, v18, s0
	s_delay_alu instid0(VALU_DEP_1)
	v_mul_f32_e32 v1, v17, v1
	v_mul_f32_e32 v2, v17, v2
	;; [unrolled: 1-line block ×16, first 2 shown]
.LBB0_11:
	s_or_b32 exec_lo, exec_lo, s1
	v_cmp_gt_u32_e64 s0, 28, v38
	s_mov_b32 s2, exec_lo
	v_cmpx_lt_u32_e32 27, v38
	s_cbranch_execz .LBB0_19
; %bb.12:
	v_lshlrev_b64 v[17:18], 3, v[33:34]
	v_dual_mov_b32 v20, 0 :: v_dual_add_nc_u32 v19, 0xfffffe40, v37
	s_delay_alu instid0(VALU_DEP_1) | instskip(SKIP_1) | instid1(VALU_DEP_3)
	v_lshrrev_b32_e32 v19, 1, v19
	s_waitcnt lgkmcnt(0)
	v_add_co_u32 v17, s1, s6, v17
	s_delay_alu instid0(VALU_DEP_1) | instskip(NEXT) | instid1(VALU_DEP_3)
	v_add_co_ci_u32_e64 v18, s1, s7, v18, s1
	v_lshlrev_b64 v[19:20], 2, v[19:20]
	global_load_b64 v[17:18], v[17:18], off
	s_waitcnt vmcnt(0)
	v_lshlrev_b64 v[17:18], 8, v[17:18]
	s_delay_alu instid0(VALU_DEP_1) | instskip(NEXT) | instid1(VALU_DEP_1)
	v_add_co_u32 v17, s1, s16, v17
	v_add_co_ci_u32_e64 v18, s1, s17, v18, s1
	s_delay_alu instid0(VALU_DEP_2) | instskip(NEXT) | instid1(VALU_DEP_1)
	v_add_co_u32 v17, s1, v17, v19
	v_add_co_ci_u32_e64 v18, s1, v18, v20, s1
	s_clause 0x3
	global_load_b128 v[20:23], v[17:18], off offset:128
	global_load_b128 v[28:31], v[17:18], off offset:144
	global_load_b128 v[39:42], v[17:18], off
	global_load_b128 v[43:46], v[17:18], off offset:16
	s_waitcnt vmcnt(3)
	v_mul_f32_e32 v17, v2, v20
	v_dual_mul_f32 v18, v1, v20 :: v_dual_mul_f32 v19, v4, v21
	v_dual_mul_f32 v20, v3, v21 :: v_dual_mul_f32 v21, v6, v22
	v_mul_f32_e32 v24, v7, v23
	v_dual_mul_f32 v22, v5, v22 :: v_dual_mul_f32 v25, v8, v23
	s_waitcnt vmcnt(2)
	v_dual_mul_f32 v27, v10, v28 :: v_dual_mul_f32 v36, v12, v29
	v_mul_f32_e32 v26, v9, v28
	v_dual_mul_f32 v28, v11, v29 :: v_dual_mul_f32 v47, v16, v31
	v_mul_f32_e32 v29, v14, v30
	v_mul_f32_e32 v30, v13, v30
	;; [unrolled: 1-line block ×3, first 2 shown]
	s_waitcnt vmcnt(1)
	v_fma_f32 v17, v1, v39, -v17
	v_fmac_f32_e32 v18, v2, v39
	v_fma_f32 v19, v3, v40, -v19
	v_fmac_f32_e32 v20, v4, v40
	;; [unrolled: 2-line block ×4, first 2 shown]
	s_waitcnt vmcnt(0)
	v_fma_f32 v25, v9, v43, -v27
	v_fmac_f32_e32 v26, v10, v43
	v_fma_f32 v27, v11, v44, -v36
	v_fmac_f32_e32 v28, v12, v44
	v_fma_f32 v29, v13, v45, -v29
	v_fmac_f32_e32 v30, v14, v45
	v_fma_f32 v31, v15, v46, -v47
	v_fmac_f32_e32 v32, v16, v46
	v_dual_mov_b32 v1, v17 :: v_dual_mov_b32 v2, v18
	v_dual_mov_b32 v3, v19 :: v_dual_mov_b32 v4, v20
	v_dual_mov_b32 v5, v21 :: v_dual_mov_b32 v6, v22
	v_dual_mov_b32 v7, v23 :: v_dual_mov_b32 v8, v24
	v_dual_mov_b32 v9, v25 :: v_dual_mov_b32 v10, v26
	v_dual_mov_b32 v11, v27 :: v_dual_mov_b32 v12, v28
	v_dual_mov_b32 v13, v29 :: v_dual_mov_b32 v14, v30
	v_dual_mov_b32 v15, v31 :: v_dual_mov_b32 v16, v32
	s_or_b32 exec_lo, exec_lo, s2
	s_and_saveexec_b32 s1, vcc_lo
	s_delay_alu instid0(SALU_CYCLE_1)
	s_xor_b32 s6, exec_lo, s1
	s_cbranch_execnz .LBB0_20
.LBB0_13:
	s_and_not1_saveexec_b32 s0, s6
	s_cbranch_execz .LBB0_15
.LBB0_14:
	v_cvt_f16_f32_e32 v17, v1
	v_ashrrev_i32_e32 v36, 31, v35
	v_lshlrev_b64 v[0:1], 13, v[33:34]
	s_waitcnt lgkmcnt(0)
	v_cvt_f16_f32_e32 v18, v2
	v_cvt_f16_f32_e32 v19, v3
	;; [unrolled: 1-line block ×3, first 2 shown]
	v_lshlrev_b64 v[2:3], 10, v[35:36]
	v_lshlrev_b32_e32 v8, 1, v37
	v_add_co_u32 v0, vcc_lo, s12, v0
	v_add_co_ci_u32_e32 v1, vcc_lo, s13, v1, vcc_lo
	v_cvt_f16_f32_e32 v4, v4
	s_delay_alu instid0(VALU_DEP_3)
	v_add_co_u32 v0, vcc_lo, v0, v2
	v_cvt_f16_f32_e32 v5, v5
	v_cvt_f16_f32_e32 v6, v6
	;; [unrolled: 1-line block ×3, first 2 shown]
	v_add_co_ci_u32_e32 v1, vcc_lo, v1, v3, vcc_lo
	v_cvt_f16_f32_e32 v21, v9
	v_cvt_f16_f32_e32 v10, v10
	v_cvt_f16_f32_e32 v11, v11
	v_cvt_f16_f32_e32 v12, v12
	v_cvt_f16_f32_e32 v13, v13
	v_cvt_f16_f32_e32 v14, v14
	v_cvt_f16_f32_e32 v15, v15
	v_cvt_f16_f32_e32 v16, v16
	v_add_co_u32 v8, vcc_lo, v0, v8
	v_add_co_ci_u32_e32 v9, vcc_lo, 0, v1, vcc_lo
	v_pack_b32_f16 v3, v7, v20
	v_pack_b32_f16 v2, v5, v6
	v_pack_b32_f16 v1, v19, v4
	v_pack_b32_f16 v0, v17, v18
	v_pack_b32_f16 v7, v15, v16
	v_pack_b32_f16 v6, v13, v14
	v_pack_b32_f16 v5, v11, v12
	v_pack_b32_f16 v4, v21, v10
	s_clause 0x1
	global_store_b128 v[8:9], v[0:3], off
	global_store_b128 v[8:9], v[4:7], off offset:16
.LBB0_15:
	s_or_b32 exec_lo, exec_lo, s0
                                        ; implicit-def: $vgpr33
                                        ; implicit-def: $vgpr35
                                        ; implicit-def: $vgpr37
.LBB0_16:
	s_and_not1_saveexec_b32 s0, s9
	s_cbranch_execz .LBB0_18
; %bb.17:
	v_ashrrev_i32_e32 v36, 31, v35
	v_lshlrev_b64 v[0:1], 13, v[33:34]
	s_mov_b32 s0, 0
	s_delay_alu instid0(SALU_CYCLE_1) | instskip(NEXT) | instid1(VALU_DEP_2)
	s_mov_b32 s1, s0
	v_lshlrev_b64 v[2:3], 10, v[35:36]
	s_mov_b32 s2, s0
	s_waitcnt lgkmcnt(0)
	v_add_co_u32 v0, vcc_lo, s12, v0
	v_add_co_ci_u32_e32 v1, vcc_lo, s13, v1, vcc_lo
	s_mov_b32 s3, s0
	s_waitcnt vmcnt(0)
	v_lshlrev_b32_e32 v4, 1, v37
	v_add_co_u32 v5, vcc_lo, v0, v2
	v_add_co_ci_u32_e32 v6, vcc_lo, v1, v3, vcc_lo
	v_dual_mov_b32 v0, s0 :: v_dual_mov_b32 v3, s3
	v_mov_b32_e32 v1, s1
	s_delay_alu instid0(VALU_DEP_4)
	v_add_co_u32 v4, vcc_lo, v5, v4
	v_mov_b32_e32 v2, s2
	v_add_co_ci_u32_e32 v5, vcc_lo, 0, v6, vcc_lo
	s_clause 0x1
	global_store_b128 v[4:5], v[0:3], off
	global_store_b128 v[4:5], v[0:3], off offset:16
.LBB0_18:
	s_nop 0
	s_sendmsg sendmsg(MSG_DEALLOC_VGPRS)
	s_endpgm
.LBB0_19:
	s_or_b32 exec_lo, exec_lo, s2
	s_and_saveexec_b32 s1, vcc_lo
	s_waitcnt lgkmcnt(0)
	s_xor_b32 s6, exec_lo, s1
	s_cbranch_execz .LBB0_13
.LBB0_20:
	v_lshlrev_b64 v[17:18], 3, v[33:34]
	s_mov_b32 s7, exec_lo
	s_delay_alu instid0(VALU_DEP_1) | instskip(NEXT) | instid1(VALU_DEP_2)
	v_add_co_u32 v17, vcc_lo, s4, v17
	v_add_co_ci_u32_e32 v18, vcc_lo, s5, v18, vcc_lo
	global_load_b64 v[17:18], v[17:18], off
	s_waitcnt vmcnt(0)
	v_cmpx_lt_i64_e32 -1, v[17:18]
                                        ; implicit-def: $vgpr34
	s_cbranch_execz .LBB0_321
; %bb.21:
	s_ashr_i32 s16, s14, 31
	v_mov_b32_e32 v19, 0
	v_or_b32_e32 v20, s16, v18
	s_mov_b32 s8, s14
	s_delay_alu instid0(VALU_DEP_1) | instskip(SKIP_1) | instid1(SALU_CYCLE_1)
	v_cmp_ne_u64_e32 vcc_lo, 0, v[19:20]
                                        ; implicit-def: $vgpr19_vgpr20
	s_and_saveexec_b32 s1, vcc_lo
	s_xor_b32 s14, exec_lo, s1
	s_cbranch_execz .LBB0_23
; %bb.22:
	s_add_u32 s4, s8, s16
	s_mov_b32 s2, s16
	s_mov_b32 s3, s16
	s_addc_u32 s5, s16, s16
	s_delay_alu instid0(SALU_CYCLE_1) | instskip(NEXT) | instid1(SALU_CYCLE_1)
	s_xor_b64 s[4:5], s[4:5], s[2:3]
	v_cvt_f32_u32_e32 v19, s4
	v_cvt_f32_u32_e32 v20, s5
	s_sub_u32 s1, 0, s4
	s_subb_u32 s17, 0, s5
	s_delay_alu instid0(VALU_DEP_1) | instskip(NEXT) | instid1(VALU_DEP_1)
	v_fmamk_f32 v19, v20, 0x4f800000, v19
	v_rcp_f32_e32 v19, v19
	s_waitcnt_depctr 0xfff
	v_mul_f32_e32 v19, 0x5f7ffffc, v19
	s_delay_alu instid0(VALU_DEP_1) | instskip(NEXT) | instid1(VALU_DEP_1)
	v_mul_f32_e32 v20, 0x2f800000, v19
	v_trunc_f32_e32 v20, v20
	s_delay_alu instid0(VALU_DEP_1) | instskip(SKIP_1) | instid1(VALU_DEP_2)
	v_fmamk_f32 v19, v20, 0xcf800000, v19
	v_cvt_u32_f32_e32 v20, v20
	v_cvt_u32_f32_e32 v19, v19
	s_delay_alu instid0(VALU_DEP_2) | instskip(NEXT) | instid1(VALU_DEP_2)
	v_mul_lo_u32 v21, s1, v20
	v_mul_hi_u32 v22, s1, v19
	v_mul_lo_u32 v23, s17, v19
	s_delay_alu instid0(VALU_DEP_2) | instskip(SKIP_1) | instid1(VALU_DEP_2)
	v_add_nc_u32_e32 v21, v22, v21
	v_mul_lo_u32 v22, s1, v19
	v_add_nc_u32_e32 v21, v21, v23
	s_delay_alu instid0(VALU_DEP_2) | instskip(NEXT) | instid1(VALU_DEP_2)
	v_mul_hi_u32 v23, v19, v22
	v_mul_lo_u32 v24, v19, v21
	v_mul_hi_u32 v25, v19, v21
	v_mul_hi_u32 v26, v20, v22
	v_mul_lo_u32 v22, v20, v22
	v_mul_hi_u32 v27, v20, v21
	v_mul_lo_u32 v21, v20, v21
	v_add_co_u32 v23, vcc_lo, v23, v24
	v_add_co_ci_u32_e32 v24, vcc_lo, 0, v25, vcc_lo
	s_delay_alu instid0(VALU_DEP_2) | instskip(NEXT) | instid1(VALU_DEP_2)
	v_add_co_u32 v22, vcc_lo, v23, v22
	v_add_co_ci_u32_e32 v22, vcc_lo, v24, v26, vcc_lo
	v_add_co_ci_u32_e32 v23, vcc_lo, 0, v27, vcc_lo
	v_ashrrev_i32_e32 v26, 31, v18
	s_delay_alu instid0(VALU_DEP_3) | instskip(NEXT) | instid1(VALU_DEP_3)
	v_add_co_u32 v21, vcc_lo, v22, v21
	v_add_co_ci_u32_e32 v22, vcc_lo, 0, v23, vcc_lo
	s_delay_alu instid0(VALU_DEP_2) | instskip(NEXT) | instid1(VALU_DEP_2)
	v_add_co_u32 v19, vcc_lo, v19, v21
	v_add_co_ci_u32_e32 v20, vcc_lo, v20, v22, vcc_lo
	s_delay_alu instid0(VALU_DEP_2) | instskip(SKIP_1) | instid1(VALU_DEP_3)
	v_mul_hi_u32 v21, s1, v19
	v_mul_lo_u32 v23, s17, v19
	v_mul_lo_u32 v22, s1, v20
	s_delay_alu instid0(VALU_DEP_1) | instskip(SKIP_1) | instid1(VALU_DEP_2)
	v_add_nc_u32_e32 v21, v21, v22
	v_mul_lo_u32 v22, s1, v19
	v_add_nc_u32_e32 v21, v21, v23
	s_delay_alu instid0(VALU_DEP_2) | instskip(NEXT) | instid1(VALU_DEP_2)
	v_mul_hi_u32 v23, v19, v22
	v_mul_lo_u32 v24, v19, v21
	v_mul_hi_u32 v25, v19, v21
	v_mul_hi_u32 v27, v20, v22
	v_mul_lo_u32 v22, v20, v22
	v_mul_hi_u32 v28, v20, v21
	v_mul_lo_u32 v21, v20, v21
	v_add_co_u32 v23, vcc_lo, v23, v24
	v_add_co_ci_u32_e32 v24, vcc_lo, 0, v25, vcc_lo
	s_delay_alu instid0(VALU_DEP_2) | instskip(NEXT) | instid1(VALU_DEP_2)
	v_add_co_u32 v22, vcc_lo, v23, v22
	v_add_co_ci_u32_e32 v22, vcc_lo, v24, v27, vcc_lo
	v_add_co_ci_u32_e32 v23, vcc_lo, 0, v28, vcc_lo
	v_add_co_u32 v24, vcc_lo, v17, v26
	v_add_co_ci_u32_e32 v25, vcc_lo, v18, v26, vcc_lo
	s_delay_alu instid0(VALU_DEP_4) | instskip(NEXT) | instid1(VALU_DEP_4)
	v_add_co_u32 v21, vcc_lo, v22, v21
	v_add_co_ci_u32_e32 v22, vcc_lo, 0, v23, vcc_lo
	s_delay_alu instid0(VALU_DEP_4) | instskip(NEXT) | instid1(VALU_DEP_3)
	v_xor_b32_e32 v27, v24, v26
	v_add_co_u32 v23, vcc_lo, v19, v21
	s_delay_alu instid0(VALU_DEP_3) | instskip(SKIP_1) | instid1(VALU_DEP_3)
	v_add_co_ci_u32_e32 v28, vcc_lo, v20, v22, vcc_lo
	v_xor_b32_e32 v25, v25, v26
	v_mul_hi_u32 v29, v27, v23
	s_delay_alu instid0(VALU_DEP_3) | instskip(NEXT) | instid1(VALU_DEP_3)
	v_mad_u64_u32 v[19:20], null, v27, v28, 0
	v_mad_u64_u32 v[21:22], null, v25, v23, 0
	;; [unrolled: 1-line block ×3, first 2 shown]
	s_delay_alu instid0(VALU_DEP_3) | instskip(NEXT) | instid1(VALU_DEP_4)
	v_add_co_u32 v19, vcc_lo, v29, v19
	v_add_co_ci_u32_e32 v20, vcc_lo, 0, v20, vcc_lo
	s_delay_alu instid0(VALU_DEP_2) | instskip(NEXT) | instid1(VALU_DEP_2)
	v_add_co_u32 v19, vcc_lo, v19, v21
	v_add_co_ci_u32_e32 v19, vcc_lo, v20, v22, vcc_lo
	v_add_co_ci_u32_e32 v20, vcc_lo, 0, v24, vcc_lo
	s_delay_alu instid0(VALU_DEP_2) | instskip(NEXT) | instid1(VALU_DEP_2)
	v_add_co_u32 v21, vcc_lo, v19, v23
	v_add_co_ci_u32_e32 v22, vcc_lo, 0, v20, vcc_lo
	s_delay_alu instid0(VALU_DEP_2) | instskip(SKIP_1) | instid1(VALU_DEP_3)
	v_mul_lo_u32 v23, s5, v21
	v_mad_u64_u32 v[19:20], null, s4, v21, 0
	v_mul_lo_u32 v24, s4, v22
	s_delay_alu instid0(VALU_DEP_2) | instskip(NEXT) | instid1(VALU_DEP_2)
	v_sub_co_u32 v19, vcc_lo, v27, v19
	v_add3_u32 v20, v20, v24, v23
	s_delay_alu instid0(VALU_DEP_1) | instskip(NEXT) | instid1(VALU_DEP_1)
	v_sub_nc_u32_e32 v23, v25, v20
	v_subrev_co_ci_u32_e64 v23, s1, s5, v23, vcc_lo
	v_add_co_u32 v24, s1, v21, 2
	s_delay_alu instid0(VALU_DEP_1) | instskip(SKIP_3) | instid1(VALU_DEP_3)
	v_add_co_ci_u32_e64 v27, s1, 0, v22, s1
	v_sub_co_u32 v28, s1, v19, s4
	v_sub_co_ci_u32_e32 v20, vcc_lo, v25, v20, vcc_lo
	v_subrev_co_ci_u32_e64 v23, s1, 0, v23, s1
	v_cmp_le_u32_e32 vcc_lo, s4, v28
	s_delay_alu instid0(VALU_DEP_3) | instskip(SKIP_1) | instid1(VALU_DEP_4)
	v_cmp_eq_u32_e64 s1, s5, v20
	v_cndmask_b32_e64 v25, 0, -1, vcc_lo
	v_cmp_le_u32_e32 vcc_lo, s5, v23
	v_cndmask_b32_e64 v28, 0, -1, vcc_lo
	v_cmp_le_u32_e32 vcc_lo, s4, v19
	;; [unrolled: 2-line block ×3, first 2 shown]
	v_cndmask_b32_e64 v29, 0, -1, vcc_lo
	v_cmp_eq_u32_e32 vcc_lo, s5, v23
	s_delay_alu instid0(VALU_DEP_2) | instskip(SKIP_3) | instid1(VALU_DEP_3)
	v_cndmask_b32_e64 v19, v29, v19, s1
	v_cndmask_b32_e32 v23, v28, v25, vcc_lo
	v_add_co_u32 v25, vcc_lo, v21, 1
	v_add_co_ci_u32_e32 v28, vcc_lo, 0, v22, vcc_lo
	v_cmp_ne_u32_e32 vcc_lo, 0, v23
	s_delay_alu instid0(VALU_DEP_2) | instskip(SKIP_2) | instid1(VALU_DEP_3)
	v_dual_cndmask_b32 v20, v28, v27 :: v_dual_cndmask_b32 v23, v25, v24
	v_cmp_ne_u32_e32 vcc_lo, 0, v19
	v_xor_b32_e32 v19, s2, v26
	v_dual_cndmask_b32 v21, v21, v23 :: v_dual_cndmask_b32 v20, v22, v20
	v_xor_b32_e32 v22, s3, v26
	s_delay_alu instid0(VALU_DEP_2) | instskip(NEXT) | instid1(VALU_DEP_2)
	v_xor_b32_e32 v21, v21, v19
	v_xor_b32_e32 v20, v20, v22
	s_delay_alu instid0(VALU_DEP_2) | instskip(NEXT) | instid1(VALU_DEP_2)
	v_sub_co_u32 v19, vcc_lo, v21, v19
	v_sub_co_ci_u32_e32 v20, vcc_lo, v20, v22, vcc_lo
.LBB0_23:
	s_and_not1_saveexec_b32 s1, s14
	s_cbranch_execz .LBB0_25
; %bb.24:
	v_cvt_f32_u32_e32 v19, s8
	s_sub_i32 s2, 0, s8
	s_delay_alu instid0(VALU_DEP_1) | instskip(SKIP_2) | instid1(VALU_DEP_1)
	v_rcp_iflag_f32_e32 v19, v19
	s_waitcnt_depctr 0xfff
	v_mul_f32_e32 v19, 0x4f7ffffe, v19
	v_cvt_u32_f32_e32 v19, v19
	s_delay_alu instid0(VALU_DEP_1) | instskip(NEXT) | instid1(VALU_DEP_1)
	v_mul_lo_u32 v20, s2, v19
	v_mul_hi_u32 v20, v19, v20
	s_delay_alu instid0(VALU_DEP_1) | instskip(NEXT) | instid1(VALU_DEP_1)
	v_add_nc_u32_e32 v19, v19, v20
	v_mul_hi_u32 v19, v17, v19
	s_delay_alu instid0(VALU_DEP_1) | instskip(SKIP_1) | instid1(VALU_DEP_2)
	v_mul_lo_u32 v20, v19, s8
	v_add_nc_u32_e32 v21, 1, v19
	v_sub_nc_u32_e32 v20, v17, v20
	s_delay_alu instid0(VALU_DEP_1) | instskip(SKIP_1) | instid1(VALU_DEP_2)
	v_subrev_nc_u32_e32 v22, s8, v20
	v_cmp_le_u32_e32 vcc_lo, s8, v20
	v_dual_cndmask_b32 v20, v20, v22 :: v_dual_cndmask_b32 v19, v19, v21
	s_delay_alu instid0(VALU_DEP_1) | instskip(NEXT) | instid1(VALU_DEP_2)
	v_cmp_le_u32_e32 vcc_lo, s8, v20
	v_dual_mov_b32 v20, 0 :: v_dual_add_nc_u32 v21, 1, v19
	s_delay_alu instid0(VALU_DEP_1)
	v_cndmask_b32_e32 v19, v19, v21, vcc_lo
.LBB0_25:
	s_or_b32 exec_lo, exec_lo, s1
	v_cvt_f16_f32_e32 v34, v1
	v_cvt_f16_f32_e32 v35, v2
	;; [unrolled: 1-line block ×5, first 2 shown]
	v_cvt_f32_f16_e32 v42, v34
	v_cvt_f32_f16_e32 v33, v35
	;; [unrolled: 1-line block ×4, first 2 shown]
	v_cvt_f16_f32_e32 v41, v6
	v_cvt_f32_f16_e32 v30, v40
	v_max3_f32 v1, |v42|, 0, |v33|
	v_cvt_f16_f32_e32 v7, v7
	v_cvt_f16_f32_e32 v43, v8
	v_cvt_f32_f16_e32 v29, v41
	v_cvt_f16_f32_e32 v8, v9
	v_max3_f32 v1, v1, |v32|, |v31|
	v_cvt_f32_f16_e32 v25, v7
	v_cvt_f32_f16_e32 v27, v43
	v_cvt_f16_f32_e32 v9, v10
	v_cvt_f32_f16_e32 v28, v8
	v_max3_f32 v1, v1, |v30|, |v29|
	v_cvt_f16_f32_e32 v10, v11
	v_cvt_f16_f32_e32 v11, v12
	v_cvt_f32_f16_e32 v26, v9
	v_mbcnt_lo_u32_b32 v5, -1, 0
	v_max3_f32 v1, v1, |v25|, |v27|
	v_cvt_f16_f32_e32 v12, v13
	v_cvt_f32_f16_e32 v24, v10
	v_cvt_f32_f16_e32 v23, v11
	v_cvt_f16_f32_e32 v14, v14
	v_max3_f32 v1, v1, |v28|, |v26|
	v_xor_b32_e32 v2, 1, v5
	v_cvt_f32_f16_e32 v22, v12
	v_cvt_f16_f32_e32 v15, v15
	v_cvt_f16_f32_e32 v44, v16
	v_cvt_f32_f16_e32 v21, v14
	v_max3_f32 v1, v1, |v24|, |v23|
	v_cmp_gt_i32_e32 vcc_lo, 32, v2
	v_cvt_f32_f16_e32 v16, v15
	v_cvt_f32_f16_e32 v13, v44
	v_xor_b32_e32 v48, 2, v5
	v_max3_f32 v1, v1, |v22|, |v21|
	v_cndmask_b32_e32 v2, v5, v2, vcc_lo
	s_ashr_i32 s1, s15, 31
	v_mul_lo_u32 v6, v20, s8
	v_cmp_gt_i32_e32 vcc_lo, 32, v48
	v_max3_f32 v45, v1, |v16|, |v13|
	v_lshlrev_b32_e32 v2, 2, v2
	v_mul_lo_u32 v46, v19, s16
	v_mad_u64_u32 v[3:4], null, v19, s15, s[10:11]
	v_mul_lo_u32 v20, v20, s15
	ds_bpermute_b32 v47, v2, v45
	v_mad_u64_u32 v[1:2], null, v19, s8, 0
	v_mul_lo_u32 v19, v19, s1
	s_delay_alu instid0(VALU_DEP_2) | instskip(NEXT) | instid1(VALU_DEP_2)
	v_add3_u32 v2, v2, v46, v6
	v_add3_u32 v4, v20, v4, v19
	v_cndmask_b32_e32 v19, v5, v48, vcc_lo
	v_sub_co_u32 v5, vcc_lo, v17, v1
	s_delay_alu instid0(VALU_DEP_4) | instskip(NEXT) | instid1(VALU_DEP_3)
	v_sub_co_ci_u32_e32 v6, vcc_lo, v18, v2, vcc_lo
	v_lshlrev_b32_e32 v18, 2, v19
	s_delay_alu instid0(VALU_DEP_3) | instskip(SKIP_2) | instid1(VALU_DEP_1)
	v_mad_u64_u32 v[1:2], null, 0x240, v5, v[3:4]
	s_waitcnt lgkmcnt(0)
	v_max_f32_e32 v17, v47, v47
	v_max_f32_e32 v17, v45, v17
	s_delay_alu instid0(VALU_DEP_3) | instskip(SKIP_3) | instid1(SALU_CYCLE_1)
	v_mad_u64_u32 v[19:20], null, 0x240, v6, v[2:3]
	ds_bpermute_b32 v18, v18, v17
	v_mov_b32_e32 v2, v19
	s_and_saveexec_b32 s1, s0
	s_xor_b32 s1, exec_lo, s1
	s_cbranch_execz .LBB0_319
; %bb.26:
	s_waitcnt lgkmcnt(0)
	v_max3_f32 v7, v17, v18, 0x38d1b717
	s_mov_b32 s0, 0xc3e00000
	s_delay_alu instid0(VALU_DEP_1) | instskip(SKIP_1) | instid1(VALU_DEP_2)
	v_div_scale_f32 v8, null, 0x43e00000, 0x43e00000, v7
	v_div_scale_f32 v11, vcc_lo, v7, 0x43e00000, v7
	v_rcp_f32_e32 v9, v8
	s_waitcnt_depctr 0xfff
	v_fma_f32 v10, -v8, v9, 1.0
	s_delay_alu instid0(VALU_DEP_1) | instskip(NEXT) | instid1(VALU_DEP_1)
	v_fmac_f32_e32 v9, v10, v9
	v_mul_f32_e32 v10, v11, v9
	s_delay_alu instid0(VALU_DEP_1) | instskip(NEXT) | instid1(VALU_DEP_1)
	v_fma_f32 v12, -v8, v10, v11
	v_fmac_f32_e32 v10, v12, v9
	s_delay_alu instid0(VALU_DEP_1) | instskip(NEXT) | instid1(VALU_DEP_1)
	v_fma_f32 v8, -v8, v10, v11
	v_div_fmas_f32 v8, v8, v9, v10
	s_delay_alu instid0(VALU_DEP_1) | instskip(NEXT) | instid1(VALU_DEP_1)
	v_div_fixup_f32 v7, v8, 0x43e00000, v7
	v_cmp_gt_f32_e32 vcc_lo, 0x800000, v7
	v_cndmask_b32_e64 v8, 1.0, 0x4f800000, vcc_lo
	s_delay_alu instid0(VALU_DEP_1) | instskip(SKIP_1) | instid1(VALU_DEP_2)
	v_mul_f32_e32 v7, v7, v8
	v_cndmask_b32_e64 v8, 0, 0x42000000, vcc_lo
	v_log_f32_e32 v7, v7
	s_waitcnt_depctr 0xfff
	v_sub_f32_e32 v7, v7, v8
	s_delay_alu instid0(VALU_DEP_1) | instskip(NEXT) | instid1(VALU_DEP_1)
	v_ceil_f32_e32 v11, v7
	v_cmp_lt_f32_e32 vcc_lo, 0x42fc0000, v11
	v_cndmask_b32_e64 v7, 0, 0x42800000, vcc_lo
	v_cndmask_b32_e64 v8, 1.0, 0x1f800000, vcc_lo
	s_delay_alu instid0(VALU_DEP_2) | instskip(NEXT) | instid1(VALU_DEP_1)
	v_sub_f32_e32 v7, v7, v11
	v_exp_f32_e32 v7, v7
	s_waitcnt_depctr 0xfff
	v_mul_f32_e32 v14, v7, v8
	s_delay_alu instid0(VALU_DEP_1) | instskip(NEXT) | instid1(VALU_DEP_1)
	v_dual_mov_b32 v8, 0 :: v_dual_mul_f32 v7, v14, v42
	v_mov_b32_e32 v18, v8
	s_delay_alu instid0(VALU_DEP_2) | instskip(SKIP_1) | instid1(VALU_DEP_1)
	v_maxmin_f32 v9, v7, s0, 0x43e00000
	s_mov_b32 s0, exec_lo
	v_lshrrev_b32_e32 v10, 24, v9
	v_and_b32_e32 v17, 0x7f800000, v9
	v_and_b32_e32 v7, 0x7fffff, v9
	s_delay_alu instid0(VALU_DEP_3) | instskip(NEXT) | instid1(VALU_DEP_1)
	v_and_b32_e32 v15, 0x80, v10
	v_or_b32_e32 v12, 0x7e, v15
	s_delay_alu instid0(VALU_DEP_4)
	v_cmpx_ne_u64_e32 0x7f800000, v[17:18]
	s_xor_b32 s2, exec_lo, s0
	s_cbranch_execz .LBB0_42
; %bb.27:
	v_dual_mov_b32 v18, v8 :: v_dual_and_b32 v17, 0x7fffffff, v9
	s_mov_b32 s0, exec_lo
	s_delay_alu instid0(VALU_DEP_1)
	v_cmpx_gt_u64_e32 0x43e00001, v[17:18]
	s_xor_b32 s3, exec_lo, s0
	s_cbranch_execz .LBB0_41
; %bb.28:
	v_mov_b32_e32 v12, 0
	s_mov_b32 s4, exec_lo
	v_cmpx_ne_u32_e32 0, v9
	s_cbranch_execz .LBB0_40
; %bb.29:
	v_bfe_u32 v12, v9, 23, 8
	v_or_b32_e32 v18, 0x800000, v7
	s_delay_alu instid0(VALU_DEP_2) | instskip(SKIP_1) | instid1(VALU_DEP_2)
	v_sub_nc_u32_e32 v9, 0x79, v12
	v_cmp_gt_u32_e32 vcc_lo, 0x7a, v12
	v_cndmask_b32_e32 v9, 0, v9, vcc_lo
	v_cmp_eq_u32_e32 vcc_lo, 0, v12
	s_delay_alu instid0(VALU_DEP_2) | instskip(NEXT) | instid1(VALU_DEP_1)
	v_cndmask_b32_e64 v17, v9, 0x78, vcc_lo
	v_dual_cndmask_b32 v7, v18, v7 :: v_dual_add_nc_u32 v18, 19, v17
	v_add_nc_u32_e32 v9, 20, v17
	s_delay_alu instid0(VALU_DEP_1) | instskip(NEXT) | instid1(VALU_DEP_1)
	v_lshlrev_b64 v[9:10], v9, -1
	v_not_b32_e32 v20, v9
	s_delay_alu instid0(VALU_DEP_2) | instskip(SKIP_1) | instid1(VALU_DEP_3)
	v_not_b32_e32 v19, v10
	v_lshlrev_b64 v[9:10], v18, 1
	v_and_b32_e32 v18, v7, v20
	v_lshrrev_b64 v[7:8], v17, v[7:8]
	s_delay_alu instid0(VALU_DEP_4) | instskip(NEXT) | instid1(VALU_DEP_1)
	v_and_b32_e32 v19, 0, v19
	v_cmp_eq_u64_e64 s0, v[18:19], v[9:10]
	s_delay_alu instid0(VALU_DEP_3) | instskip(NEXT) | instid1(VALU_DEP_2)
	v_dual_mov_b32 v10, v8 :: v_dual_mov_b32 v9, v7
	s_and_saveexec_b32 s5, s0
; %bb.30:
	v_bfe_u32 v9, v7, 20, 1
	s_delay_alu instid0(VALU_DEP_1) | instskip(NEXT) | instid1(VALU_DEP_1)
	v_add_co_u32 v9, s0, v7, v9
	v_add_co_u32 v9, s0, v9, -1
; %bb.31:
	s_or_b32 exec_lo, exec_lo, s5
	v_add_nc_u32_e32 v10, 0xffffff81, v12
	v_lshrrev_b32_e32 v12, 23, v7
	s_delay_alu instid0(VALU_DEP_3) | instskip(SKIP_1) | instid1(VALU_DEP_3)
	v_and_b32_e32 v9, 0xfffff, v9
	s_mov_b32 s0, exec_lo
	v_cndmask_b32_e64 v10, v10, 0xffffff82, vcc_lo
	s_delay_alu instid0(VALU_DEP_2) | instskip(SKIP_1) | instid1(VALU_DEP_3)
	v_add_co_u32 v7, vcc_lo, v9, v7
	v_add_co_ci_u32_e32 v8, vcc_lo, 0, v8, vcc_lo
	v_add3_u32 v10, v17, v10, v12
                                        ; implicit-def: $vgpr9
	s_delay_alu instid0(VALU_DEP_1) | instskip(NEXT) | instid1(VALU_DEP_1)
	v_add_nc_u32_e32 v12, 6, v10
	v_cmpx_ne_u32_e32 0, v12
	s_xor_b32 s0, exec_lo, s0
; %bb.32:
	v_cmp_lt_u64_e32 vcc_lo, 0xffffff, v[7:8]
	v_add_nc_u32_e32 v9, 7, v10
	v_cndmask_b32_e64 v10, 0, 1, vcc_lo
	s_delay_alu instid0(VALU_DEP_2) | instskip(NEXT) | instid1(VALU_DEP_2)
	v_cndmask_b32_e32 v9, v12, v9, vcc_lo
	v_lshrrev_b64 v[7:8], v10, v[7:8]
; %bb.33:
	s_and_not1_saveexec_b32 s0, s0
; %bb.34:
	s_delay_alu instid0(VALU_DEP_1)
	v_bfe_u32 v9, v7, 23, 1
; %bb.35:
	s_or_b32 exec_lo, exec_lo, s0
	s_delay_alu instid0(VALU_DEP_2) | instskip(NEXT) | instid1(VALU_DEP_2)
	v_lshrrev_b64 v[7:8], 20, v[7:8]
	v_cmp_gt_i32_e32 vcc_lo, 16, v9
	v_cmp_ne_u32_e64 s0, 0, v9
                                        ; implicit-def: $vgpr12
	s_delay_alu instid0(VALU_DEP_3) | instskip(NEXT) | instid1(VALU_DEP_1)
	v_dual_cndmask_b32 v8, 0, v8 :: v_dual_cndmask_b32 v7, 7, v7
	v_cmp_ne_u64_e32 vcc_lo, 0, v[7:8]
	s_delay_alu instid0(VALU_DEP_3) | instskip(NEXT) | instid1(SALU_CYCLE_1)
	s_or_b32 s0, s0, vcc_lo
	s_and_saveexec_b32 s5, s0
	s_delay_alu instid0(SALU_CYCLE_1)
	s_xor_b32 s0, exec_lo, s5
; %bb.36:
	v_min_i32_e32 v8, 15, v9
	s_delay_alu instid0(VALU_DEP_1) | instskip(NEXT) | instid1(VALU_DEP_1)
	v_lshl_or_b32 v8, v8, 3, v15
                                        ; implicit-def: $vgpr15
	v_and_or_b32 v12, v7, 7, v8
; %bb.37:
	s_and_not1_saveexec_b32 s0, s0
; %bb.38:
	v_mov_b32_e32 v12, v15
; %bb.39:
	s_or_b32 exec_lo, exec_lo, s0
.LBB0_40:
	s_delay_alu instid0(SALU_CYCLE_1)
	s_or_b32 exec_lo, exec_lo, s4
.LBB0_41:
	s_and_not1_saveexec_b32 s0, s3
	s_delay_alu instid0(SALU_CYCLE_1)
	s_or_b32 exec_lo, exec_lo, s0
                                        ; implicit-def: $vgpr10
                                        ; implicit-def: $vgpr7_vgpr8
.LBB0_42:
	s_and_not1_saveexec_b32 s0, s2
; %bb.43:
	v_cmp_eq_u64_e32 vcc_lo, 0, v[7:8]
	v_or_b32_e32 v9, 0x7f, v10
	s_delay_alu instid0(VALU_DEP_1)
	v_cndmask_b32_e32 v12, v9, v12, vcc_lo
; %bb.44:
	s_or_b32 exec_lo, exec_lo, s0
	v_dual_mul_f32 v7, v14, v33 :: v_dual_mov_b32 v8, 0
	s_mov_b32 s0, 0xc3e00000
	s_delay_alu instid0(VALU_DEP_1) | instid1(SALU_CYCLE_1)
	v_maxmin_f32 v9, v7, s0, 0x43e00000
	s_mov_b32 s0, exec_lo
	s_delay_alu instid0(VALU_DEP_2) | instskip(NEXT) | instid1(VALU_DEP_2)
	v_mov_b32_e32 v19, v8
	v_lshrrev_b32_e32 v10, 24, v9
	v_and_b32_e32 v18, 0x7f800000, v9
	v_and_b32_e32 v7, 0x7fffff, v9
	s_delay_alu instid0(VALU_DEP_3) | instskip(NEXT) | instid1(VALU_DEP_1)
	v_and_b32_e32 v17, 0x80, v10
	v_or_b32_e32 v15, 0x7e, v17
	s_delay_alu instid0(VALU_DEP_4)
	v_cmpx_ne_u64_e32 0x7f800000, v[18:19]
	s_xor_b32 s2, exec_lo, s0
	s_cbranch_execz .LBB0_60
; %bb.45:
	v_dual_mov_b32 v19, v8 :: v_dual_and_b32 v18, 0x7fffffff, v9
	s_mov_b32 s0, exec_lo
	s_delay_alu instid0(VALU_DEP_1)
	v_cmpx_gt_u64_e32 0x43e00001, v[18:19]
	s_xor_b32 s3, exec_lo, s0
	s_cbranch_execz .LBB0_59
; %bb.46:
	v_mov_b32_e32 v15, 0
	s_mov_b32 s4, exec_lo
	v_cmpx_ne_u32_e32 0, v9
	s_cbranch_execz .LBB0_58
; %bb.47:
	v_bfe_u32 v15, v9, 23, 8
	v_or_b32_e32 v19, 0x800000, v7
	s_delay_alu instid0(VALU_DEP_2) | instskip(SKIP_1) | instid1(VALU_DEP_2)
	v_sub_nc_u32_e32 v9, 0x79, v15
	v_cmp_gt_u32_e32 vcc_lo, 0x7a, v15
	v_cndmask_b32_e32 v9, 0, v9, vcc_lo
	v_cmp_eq_u32_e32 vcc_lo, 0, v15
	s_delay_alu instid0(VALU_DEP_2) | instskip(SKIP_1) | instid1(VALU_DEP_2)
	v_cndmask_b32_e64 v18, v9, 0x78, vcc_lo
	v_cndmask_b32_e32 v7, v19, v7, vcc_lo
	v_add_nc_u32_e32 v9, 20, v18
	v_add_nc_u32_e32 v19, 19, v18
	s_delay_alu instid0(VALU_DEP_2) | instskip(NEXT) | instid1(VALU_DEP_1)
	v_lshlrev_b64 v[9:10], v9, -1
	v_not_b32_e32 v33, v9
	s_delay_alu instid0(VALU_DEP_2) | instskip(NEXT) | instid1(VALU_DEP_4)
	v_not_b32_e32 v20, v10
	v_lshlrev_b64 v[9:10], v19, 1
	s_delay_alu instid0(VALU_DEP_3) | instskip(SKIP_1) | instid1(VALU_DEP_4)
	v_and_b32_e32 v19, v7, v33
	v_lshrrev_b64 v[7:8], v18, v[7:8]
	v_and_b32_e32 v20, 0, v20
	s_delay_alu instid0(VALU_DEP_1) | instskip(NEXT) | instid1(VALU_DEP_3)
	v_cmp_eq_u64_e64 s0, v[19:20], v[9:10]
	v_dual_mov_b32 v10, v8 :: v_dual_mov_b32 v9, v7
	s_delay_alu instid0(VALU_DEP_2)
	s_and_saveexec_b32 s5, s0
; %bb.48:
	v_bfe_u32 v9, v7, 20, 1
	s_delay_alu instid0(VALU_DEP_1) | instskip(NEXT) | instid1(VALU_DEP_1)
	v_add_co_u32 v9, s0, v7, v9
	v_add_co_u32 v9, s0, v9, -1
; %bb.49:
	s_or_b32 exec_lo, exec_lo, s5
	v_add_nc_u32_e32 v10, 0xffffff81, v15
	v_lshrrev_b32_e32 v15, 23, v7
	s_delay_alu instid0(VALU_DEP_3) | instskip(SKIP_1) | instid1(VALU_DEP_3)
	v_and_b32_e32 v9, 0xfffff, v9
	s_mov_b32 s0, exec_lo
	v_cndmask_b32_e64 v10, v10, 0xffffff82, vcc_lo
	s_delay_alu instid0(VALU_DEP_2) | instskip(SKIP_1) | instid1(VALU_DEP_3)
	v_add_co_u32 v7, vcc_lo, v9, v7
	v_add_co_ci_u32_e32 v8, vcc_lo, 0, v8, vcc_lo
	v_add3_u32 v10, v18, v10, v15
                                        ; implicit-def: $vgpr9
	s_delay_alu instid0(VALU_DEP_1) | instskip(NEXT) | instid1(VALU_DEP_1)
	v_add_nc_u32_e32 v15, 6, v10
	v_cmpx_ne_u32_e32 0, v15
	s_xor_b32 s0, exec_lo, s0
; %bb.50:
	v_cmp_lt_u64_e32 vcc_lo, 0xffffff, v[7:8]
	v_add_nc_u32_e32 v9, 7, v10
	v_cndmask_b32_e64 v10, 0, 1, vcc_lo
	s_delay_alu instid0(VALU_DEP_2) | instskip(NEXT) | instid1(VALU_DEP_2)
	v_cndmask_b32_e32 v9, v15, v9, vcc_lo
	v_lshrrev_b64 v[7:8], v10, v[7:8]
; %bb.51:
	s_and_not1_saveexec_b32 s0, s0
; %bb.52:
	s_delay_alu instid0(VALU_DEP_1)
	v_bfe_u32 v9, v7, 23, 1
; %bb.53:
	s_or_b32 exec_lo, exec_lo, s0
	s_delay_alu instid0(VALU_DEP_2) | instskip(NEXT) | instid1(VALU_DEP_2)
	v_lshrrev_b64 v[7:8], 20, v[7:8]
	v_cmp_gt_i32_e32 vcc_lo, 16, v9
	v_cmp_ne_u32_e64 s0, 0, v9
                                        ; implicit-def: $vgpr15
	s_delay_alu instid0(VALU_DEP_3) | instskip(NEXT) | instid1(VALU_DEP_1)
	v_dual_cndmask_b32 v8, 0, v8 :: v_dual_cndmask_b32 v7, 7, v7
	v_cmp_ne_u64_e32 vcc_lo, 0, v[7:8]
	s_delay_alu instid0(VALU_DEP_3) | instskip(NEXT) | instid1(SALU_CYCLE_1)
	s_or_b32 s0, s0, vcc_lo
	s_and_saveexec_b32 s5, s0
	s_delay_alu instid0(SALU_CYCLE_1)
	s_xor_b32 s0, exec_lo, s5
; %bb.54:
	v_min_i32_e32 v8, 15, v9
	s_delay_alu instid0(VALU_DEP_1) | instskip(NEXT) | instid1(VALU_DEP_1)
	v_lshl_or_b32 v8, v8, 3, v17
                                        ; implicit-def: $vgpr17
	v_and_or_b32 v15, v7, 7, v8
; %bb.55:
	s_and_not1_saveexec_b32 s0, s0
; %bb.56:
	v_mov_b32_e32 v15, v17
; %bb.57:
	s_or_b32 exec_lo, exec_lo, s0
.LBB0_58:
	s_delay_alu instid0(SALU_CYCLE_1)
	s_or_b32 exec_lo, exec_lo, s4
.LBB0_59:
	s_and_not1_saveexec_b32 s0, s3
	s_delay_alu instid0(SALU_CYCLE_1)
	s_or_b32 exec_lo, exec_lo, s0
                                        ; implicit-def: $vgpr10
                                        ; implicit-def: $vgpr7_vgpr8
.LBB0_60:
	s_and_not1_saveexec_b32 s0, s2
; %bb.61:
	v_cmp_eq_u64_e32 vcc_lo, 0, v[7:8]
	v_or_b32_e32 v9, 0x7f, v10
	s_delay_alu instid0(VALU_DEP_1)
	v_cndmask_b32_e32 v15, v9, v15, vcc_lo
; %bb.62:
	s_or_b32 exec_lo, exec_lo, s0
	v_dual_mul_f32 v7, v14, v32 :: v_dual_mov_b32 v8, 0
	s_mov_b32 s0, 0xc3e00000
	s_delay_alu instid0(VALU_DEP_1) | instid1(SALU_CYCLE_1)
	v_maxmin_f32 v9, v7, s0, 0x43e00000
	s_mov_b32 s0, exec_lo
	s_delay_alu instid0(VALU_DEP_2) | instskip(NEXT) | instid1(VALU_DEP_2)
	v_mov_b32_e32 v20, v8
	v_lshrrev_b32_e32 v10, 24, v9
	v_and_b32_e32 v19, 0x7f800000, v9
	v_and_b32_e32 v7, 0x7fffff, v9
	s_delay_alu instid0(VALU_DEP_3) | instskip(NEXT) | instid1(VALU_DEP_1)
	v_and_b32_e32 v18, 0x80, v10
	v_or_b32_e32 v17, 0x7e, v18
	s_delay_alu instid0(VALU_DEP_4)
	v_cmpx_ne_u64_e32 0x7f800000, v[19:20]
	s_xor_b32 s2, exec_lo, s0
	s_cbranch_execz .LBB0_78
; %bb.63:
	v_dual_mov_b32 v20, v8 :: v_dual_and_b32 v19, 0x7fffffff, v9
	s_mov_b32 s0, exec_lo
	s_delay_alu instid0(VALU_DEP_1)
	v_cmpx_gt_u64_e32 0x43e00001, v[19:20]
	s_xor_b32 s3, exec_lo, s0
	s_cbranch_execz .LBB0_77
; %bb.64:
	v_mov_b32_e32 v17, 0
	s_mov_b32 s4, exec_lo
	v_cmpx_ne_u32_e32 0, v9
	s_cbranch_execz .LBB0_76
; %bb.65:
	v_bfe_u32 v17, v9, 23, 8
	v_or_b32_e32 v20, 0x800000, v7
	s_delay_alu instid0(VALU_DEP_2) | instskip(SKIP_1) | instid1(VALU_DEP_2)
	v_sub_nc_u32_e32 v9, 0x79, v17
	v_cmp_gt_u32_e32 vcc_lo, 0x7a, v17
	v_cndmask_b32_e32 v9, 0, v9, vcc_lo
	v_cmp_eq_u32_e32 vcc_lo, 0, v17
	s_delay_alu instid0(VALU_DEP_2) | instskip(SKIP_1) | instid1(VALU_DEP_2)
	v_cndmask_b32_e64 v19, v9, 0x78, vcc_lo
	v_cndmask_b32_e32 v7, v20, v7, vcc_lo
	v_add_nc_u32_e32 v20, 19, v19
	v_add_nc_u32_e32 v9, 20, v19
	s_delay_alu instid0(VALU_DEP_1) | instskip(NEXT) | instid1(VALU_DEP_1)
	v_lshlrev_b64 v[9:10], v9, -1
	v_not_b32_e32 v32, v10
	s_delay_alu instid0(VALU_DEP_2) | instskip(SKIP_1) | instid1(VALU_DEP_3)
	v_not_b32_e32 v34, v9
	v_lshlrev_b64 v[9:10], v20, 1
	v_and_b32_e32 v33, 0, v32
	s_delay_alu instid0(VALU_DEP_3) | instskip(SKIP_1) | instid1(VALU_DEP_2)
	v_and_b32_e32 v32, v7, v34
	v_lshrrev_b64 v[7:8], v19, v[7:8]
	v_cmp_eq_u64_e64 s0, v[32:33], v[9:10]
	s_delay_alu instid0(VALU_DEP_2) | instskip(NEXT) | instid1(VALU_DEP_2)
	v_dual_mov_b32 v10, v8 :: v_dual_mov_b32 v9, v7
	s_and_saveexec_b32 s5, s0
; %bb.66:
	v_bfe_u32 v9, v7, 20, 1
	s_delay_alu instid0(VALU_DEP_1) | instskip(NEXT) | instid1(VALU_DEP_1)
	v_add_co_u32 v9, s0, v7, v9
	v_add_co_u32 v9, s0, v9, -1
; %bb.67:
	s_or_b32 exec_lo, exec_lo, s5
	v_add_nc_u32_e32 v10, 0xffffff81, v17
	v_lshrrev_b32_e32 v17, 23, v7
	s_delay_alu instid0(VALU_DEP_3) | instskip(SKIP_1) | instid1(VALU_DEP_3)
	v_and_b32_e32 v9, 0xfffff, v9
	s_mov_b32 s0, exec_lo
	v_cndmask_b32_e64 v10, v10, 0xffffff82, vcc_lo
	s_delay_alu instid0(VALU_DEP_2) | instskip(SKIP_1) | instid1(VALU_DEP_3)
	v_add_co_u32 v7, vcc_lo, v9, v7
	v_add_co_ci_u32_e32 v8, vcc_lo, 0, v8, vcc_lo
	v_add3_u32 v10, v19, v10, v17
                                        ; implicit-def: $vgpr9
	s_delay_alu instid0(VALU_DEP_1) | instskip(NEXT) | instid1(VALU_DEP_1)
	v_add_nc_u32_e32 v17, 6, v10
	v_cmpx_ne_u32_e32 0, v17
	s_xor_b32 s0, exec_lo, s0
; %bb.68:
	v_cmp_lt_u64_e32 vcc_lo, 0xffffff, v[7:8]
	v_add_nc_u32_e32 v9, 7, v10
	v_cndmask_b32_e64 v10, 0, 1, vcc_lo
	s_delay_alu instid0(VALU_DEP_2) | instskip(NEXT) | instid1(VALU_DEP_2)
	v_cndmask_b32_e32 v9, v17, v9, vcc_lo
	v_lshrrev_b64 v[7:8], v10, v[7:8]
; %bb.69:
	s_and_not1_saveexec_b32 s0, s0
; %bb.70:
	s_delay_alu instid0(VALU_DEP_1)
	v_bfe_u32 v9, v7, 23, 1
; %bb.71:
	s_or_b32 exec_lo, exec_lo, s0
	s_delay_alu instid0(VALU_DEP_2) | instskip(NEXT) | instid1(VALU_DEP_2)
	v_lshrrev_b64 v[7:8], 20, v[7:8]
	v_cmp_gt_i32_e32 vcc_lo, 16, v9
	v_cmp_ne_u32_e64 s0, 0, v9
                                        ; implicit-def: $vgpr17
	s_delay_alu instid0(VALU_DEP_3) | instskip(NEXT) | instid1(VALU_DEP_1)
	v_dual_cndmask_b32 v8, 0, v8 :: v_dual_cndmask_b32 v7, 7, v7
	v_cmp_ne_u64_e32 vcc_lo, 0, v[7:8]
	s_delay_alu instid0(VALU_DEP_3) | instskip(NEXT) | instid1(SALU_CYCLE_1)
	s_or_b32 s0, s0, vcc_lo
	s_and_saveexec_b32 s5, s0
	s_delay_alu instid0(SALU_CYCLE_1)
	s_xor_b32 s0, exec_lo, s5
; %bb.72:
	v_min_i32_e32 v8, 15, v9
	s_delay_alu instid0(VALU_DEP_1) | instskip(NEXT) | instid1(VALU_DEP_1)
	v_lshl_or_b32 v8, v8, 3, v18
                                        ; implicit-def: $vgpr18
	v_and_or_b32 v17, v7, 7, v8
; %bb.73:
	s_and_not1_saveexec_b32 s0, s0
; %bb.74:
	v_mov_b32_e32 v17, v18
; %bb.75:
	s_or_b32 exec_lo, exec_lo, s0
.LBB0_76:
	s_delay_alu instid0(SALU_CYCLE_1)
	s_or_b32 exec_lo, exec_lo, s4
.LBB0_77:
	s_and_not1_saveexec_b32 s0, s3
	s_delay_alu instid0(SALU_CYCLE_1)
	s_or_b32 exec_lo, exec_lo, s0
                                        ; implicit-def: $vgpr10
                                        ; implicit-def: $vgpr7_vgpr8
.LBB0_78:
	s_and_not1_saveexec_b32 s0, s2
; %bb.79:
	v_cmp_eq_u64_e32 vcc_lo, 0, v[7:8]
	v_or_b32_e32 v9, 0x7f, v10
	s_delay_alu instid0(VALU_DEP_1)
	v_cndmask_b32_e32 v17, v9, v17, vcc_lo
; %bb.80:
	s_or_b32 exec_lo, exec_lo, s0
	v_dual_mul_f32 v7, v14, v31 :: v_dual_mov_b32 v8, 0
	s_mov_b32 s0, 0xc3e00000
	s_delay_alu instid0(VALU_DEP_1) | instid1(SALU_CYCLE_1)
	v_maxmin_f32 v9, v7, s0, 0x43e00000
	s_mov_b32 s0, exec_lo
	s_delay_alu instid0(VALU_DEP_2) | instskip(NEXT) | instid1(VALU_DEP_2)
	v_mov_b32_e32 v32, v8
	v_lshrrev_b32_e32 v10, 24, v9
	v_and_b32_e32 v31, 0x7f800000, v9
	v_and_b32_e32 v7, 0x7fffff, v9
	s_delay_alu instid0(VALU_DEP_3) | instskip(NEXT) | instid1(VALU_DEP_1)
	v_and_b32_e32 v19, 0x80, v10
	v_or_b32_e32 v18, 0x7e, v19
	s_delay_alu instid0(VALU_DEP_4)
	v_cmpx_ne_u64_e32 0x7f800000, v[31:32]
	s_xor_b32 s2, exec_lo, s0
	s_cbranch_execz .LBB0_96
; %bb.81:
	v_dual_mov_b32 v32, v8 :: v_dual_and_b32 v31, 0x7fffffff, v9
	s_mov_b32 s0, exec_lo
	s_delay_alu instid0(VALU_DEP_1)
	v_cmpx_gt_u64_e32 0x43e00001, v[31:32]
	s_xor_b32 s3, exec_lo, s0
	s_cbranch_execz .LBB0_95
; %bb.82:
	v_mov_b32_e32 v18, 0
	s_mov_b32 s4, exec_lo
	v_cmpx_ne_u32_e32 0, v9
	s_cbranch_execz .LBB0_94
; %bb.83:
	v_bfe_u32 v18, v9, 23, 8
	v_or_b32_e32 v31, 0x800000, v7
	s_delay_alu instid0(VALU_DEP_2) | instskip(SKIP_1) | instid1(VALU_DEP_2)
	v_sub_nc_u32_e32 v9, 0x79, v18
	v_cmp_gt_u32_e32 vcc_lo, 0x7a, v18
	v_cndmask_b32_e32 v9, 0, v9, vcc_lo
	v_cmp_eq_u32_e32 vcc_lo, 0, v18
	s_delay_alu instid0(VALU_DEP_2) | instskip(SKIP_1) | instid1(VALU_DEP_2)
	v_cndmask_b32_e64 v20, v9, 0x78, vcc_lo
	v_cndmask_b32_e32 v7, v31, v7, vcc_lo
	v_add_nc_u32_e32 v9, 20, v20
	v_add_nc_u32_e32 v31, 19, v20
	s_delay_alu instid0(VALU_DEP_2) | instskip(NEXT) | instid1(VALU_DEP_1)
	v_lshlrev_b64 v[9:10], v9, -1
	v_not_b32_e32 v33, v9
	s_delay_alu instid0(VALU_DEP_2) | instskip(NEXT) | instid1(VALU_DEP_4)
	v_not_b32_e32 v32, v10
	v_lshlrev_b64 v[9:10], v31, 1
	s_delay_alu instid0(VALU_DEP_3) | instskip(SKIP_1) | instid1(VALU_DEP_4)
	v_and_b32_e32 v31, v7, v33
	v_lshrrev_b64 v[7:8], v20, v[7:8]
	v_and_b32_e32 v32, 0, v32
	s_delay_alu instid0(VALU_DEP_1) | instskip(NEXT) | instid1(VALU_DEP_3)
	v_cmp_eq_u64_e64 s0, v[31:32], v[9:10]
	v_dual_mov_b32 v10, v8 :: v_dual_mov_b32 v9, v7
	s_delay_alu instid0(VALU_DEP_2)
	s_and_saveexec_b32 s5, s0
; %bb.84:
	v_bfe_u32 v9, v7, 20, 1
	s_delay_alu instid0(VALU_DEP_1) | instskip(NEXT) | instid1(VALU_DEP_1)
	v_add_co_u32 v9, s0, v7, v9
	v_add_co_u32 v9, s0, v9, -1
; %bb.85:
	s_or_b32 exec_lo, exec_lo, s5
	v_add_nc_u32_e32 v10, 0xffffff81, v18
	v_lshrrev_b32_e32 v18, 23, v7
	s_delay_alu instid0(VALU_DEP_3) | instskip(SKIP_1) | instid1(VALU_DEP_3)
	v_and_b32_e32 v9, 0xfffff, v9
	s_mov_b32 s0, exec_lo
	v_cndmask_b32_e64 v10, v10, 0xffffff82, vcc_lo
	s_delay_alu instid0(VALU_DEP_2) | instskip(SKIP_1) | instid1(VALU_DEP_3)
	v_add_co_u32 v7, vcc_lo, v9, v7
	v_add_co_ci_u32_e32 v8, vcc_lo, 0, v8, vcc_lo
	v_add3_u32 v10, v20, v10, v18
                                        ; implicit-def: $vgpr9
	s_delay_alu instid0(VALU_DEP_1) | instskip(NEXT) | instid1(VALU_DEP_1)
	v_add_nc_u32_e32 v18, 6, v10
	v_cmpx_ne_u32_e32 0, v18
	s_xor_b32 s0, exec_lo, s0
; %bb.86:
	v_cmp_lt_u64_e32 vcc_lo, 0xffffff, v[7:8]
	v_add_nc_u32_e32 v9, 7, v10
	v_cndmask_b32_e64 v10, 0, 1, vcc_lo
	s_delay_alu instid0(VALU_DEP_2) | instskip(NEXT) | instid1(VALU_DEP_2)
	v_cndmask_b32_e32 v9, v18, v9, vcc_lo
	v_lshrrev_b64 v[7:8], v10, v[7:8]
; %bb.87:
	s_and_not1_saveexec_b32 s0, s0
; %bb.88:
	s_delay_alu instid0(VALU_DEP_1)
	v_bfe_u32 v9, v7, 23, 1
; %bb.89:
	s_or_b32 exec_lo, exec_lo, s0
	s_delay_alu instid0(VALU_DEP_2) | instskip(NEXT) | instid1(VALU_DEP_2)
	v_lshrrev_b64 v[7:8], 20, v[7:8]
	v_cmp_gt_i32_e32 vcc_lo, 16, v9
	v_cmp_ne_u32_e64 s0, 0, v9
                                        ; implicit-def: $vgpr18
	s_delay_alu instid0(VALU_DEP_3) | instskip(NEXT) | instid1(VALU_DEP_1)
	v_dual_cndmask_b32 v8, 0, v8 :: v_dual_cndmask_b32 v7, 7, v7
	v_cmp_ne_u64_e32 vcc_lo, 0, v[7:8]
	s_delay_alu instid0(VALU_DEP_3) | instskip(NEXT) | instid1(SALU_CYCLE_1)
	s_or_b32 s0, s0, vcc_lo
	s_and_saveexec_b32 s5, s0
	s_delay_alu instid0(SALU_CYCLE_1)
	s_xor_b32 s0, exec_lo, s5
; %bb.90:
	v_min_i32_e32 v8, 15, v9
	s_delay_alu instid0(VALU_DEP_1) | instskip(NEXT) | instid1(VALU_DEP_1)
	v_lshl_or_b32 v8, v8, 3, v19
                                        ; implicit-def: $vgpr19
	v_and_or_b32 v18, v7, 7, v8
; %bb.91:
	s_and_not1_saveexec_b32 s0, s0
; %bb.92:
	v_mov_b32_e32 v18, v19
; %bb.93:
	s_or_b32 exec_lo, exec_lo, s0
.LBB0_94:
	s_delay_alu instid0(SALU_CYCLE_1)
	s_or_b32 exec_lo, exec_lo, s4
.LBB0_95:
	s_and_not1_saveexec_b32 s0, s3
	s_delay_alu instid0(SALU_CYCLE_1)
	s_or_b32 exec_lo, exec_lo, s0
                                        ; implicit-def: $vgpr10
                                        ; implicit-def: $vgpr7_vgpr8
.LBB0_96:
	s_and_not1_saveexec_b32 s0, s2
; %bb.97:
	v_cmp_eq_u64_e32 vcc_lo, 0, v[7:8]
	v_or_b32_e32 v9, 0x7f, v10
	s_delay_alu instid0(VALU_DEP_1)
	v_cndmask_b32_e32 v18, v9, v18, vcc_lo
; %bb.98:
	s_or_b32 exec_lo, exec_lo, s0
	v_dual_mul_f32 v7, v14, v30 :: v_dual_mov_b32 v8, 0
	s_mov_b32 s0, 0xc3e00000
	s_delay_alu instid0(VALU_DEP_1) | instid1(SALU_CYCLE_1)
	v_maxmin_f32 v9, v7, s0, 0x43e00000
	s_mov_b32 s0, exec_lo
	s_delay_alu instid0(VALU_DEP_2) | instskip(NEXT) | instid1(VALU_DEP_2)
	v_mov_b32_e32 v31, v8
	v_lshrrev_b32_e32 v10, 24, v9
	v_and_b32_e32 v30, 0x7f800000, v9
	v_and_b32_e32 v7, 0x7fffff, v9
	s_delay_alu instid0(VALU_DEP_3) | instskip(NEXT) | instid1(VALU_DEP_1)
	v_and_b32_e32 v20, 0x80, v10
	v_or_b32_e32 v19, 0x7e, v20
	s_delay_alu instid0(VALU_DEP_4)
	v_cmpx_ne_u64_e32 0x7f800000, v[30:31]
	s_xor_b32 s2, exec_lo, s0
	s_cbranch_execz .LBB0_114
; %bb.99:
	v_dual_mov_b32 v31, v8 :: v_dual_and_b32 v30, 0x7fffffff, v9
	s_mov_b32 s0, exec_lo
	s_delay_alu instid0(VALU_DEP_1)
	v_cmpx_gt_u64_e32 0x43e00001, v[30:31]
	s_xor_b32 s3, exec_lo, s0
	s_cbranch_execz .LBB0_113
; %bb.100:
	v_mov_b32_e32 v19, 0
	s_mov_b32 s4, exec_lo
	v_cmpx_ne_u32_e32 0, v9
	s_cbranch_execz .LBB0_112
; %bb.101:
	v_bfe_u32 v19, v9, 23, 8
	v_or_b32_e32 v31, 0x800000, v7
	s_delay_alu instid0(VALU_DEP_2) | instskip(SKIP_1) | instid1(VALU_DEP_2)
	v_sub_nc_u32_e32 v9, 0x79, v19
	v_cmp_gt_u32_e32 vcc_lo, 0x7a, v19
	v_cndmask_b32_e32 v9, 0, v9, vcc_lo
	v_cmp_eq_u32_e32 vcc_lo, 0, v19
	s_delay_alu instid0(VALU_DEP_2) | instskip(SKIP_1) | instid1(VALU_DEP_2)
	v_cndmask_b32_e64 v30, v9, 0x78, vcc_lo
	v_cndmask_b32_e32 v7, v31, v7, vcc_lo
	v_add_nc_u32_e32 v9, 20, v30
	v_add_nc_u32_e32 v31, 19, v30
	s_delay_alu instid0(VALU_DEP_2) | instskip(NEXT) | instid1(VALU_DEP_1)
	v_lshlrev_b64 v[9:10], v9, -1
	v_not_b32_e32 v33, v9
	s_delay_alu instid0(VALU_DEP_2) | instskip(NEXT) | instid1(VALU_DEP_4)
	v_not_b32_e32 v32, v10
	v_lshlrev_b64 v[9:10], v31, 1
	s_delay_alu instid0(VALU_DEP_3) | instskip(SKIP_1) | instid1(VALU_DEP_4)
	v_and_b32_e32 v31, v7, v33
	v_lshrrev_b64 v[7:8], v30, v[7:8]
	v_and_b32_e32 v32, 0, v32
	s_delay_alu instid0(VALU_DEP_1) | instskip(NEXT) | instid1(VALU_DEP_3)
	v_cmp_eq_u64_e64 s0, v[31:32], v[9:10]
	v_dual_mov_b32 v10, v8 :: v_dual_mov_b32 v9, v7
	s_delay_alu instid0(VALU_DEP_2)
	s_and_saveexec_b32 s5, s0
; %bb.102:
	v_bfe_u32 v9, v7, 20, 1
	s_delay_alu instid0(VALU_DEP_1) | instskip(NEXT) | instid1(VALU_DEP_1)
	v_add_co_u32 v9, s0, v7, v9
	v_add_co_u32 v9, s0, v9, -1
; %bb.103:
	s_or_b32 exec_lo, exec_lo, s5
	v_add_nc_u32_e32 v10, 0xffffff81, v19
	v_lshrrev_b32_e32 v19, 23, v7
	s_delay_alu instid0(VALU_DEP_3) | instskip(SKIP_1) | instid1(VALU_DEP_3)
	v_and_b32_e32 v9, 0xfffff, v9
	s_mov_b32 s0, exec_lo
	v_cndmask_b32_e64 v10, v10, 0xffffff82, vcc_lo
	s_delay_alu instid0(VALU_DEP_2) | instskip(SKIP_1) | instid1(VALU_DEP_3)
	v_add_co_u32 v7, vcc_lo, v9, v7
	v_add_co_ci_u32_e32 v8, vcc_lo, 0, v8, vcc_lo
	v_add3_u32 v10, v30, v10, v19
                                        ; implicit-def: $vgpr9
	s_delay_alu instid0(VALU_DEP_1) | instskip(NEXT) | instid1(VALU_DEP_1)
	v_add_nc_u32_e32 v19, 6, v10
	v_cmpx_ne_u32_e32 0, v19
	s_xor_b32 s0, exec_lo, s0
; %bb.104:
	v_cmp_lt_u64_e32 vcc_lo, 0xffffff, v[7:8]
	v_add_nc_u32_e32 v9, 7, v10
	v_cndmask_b32_e64 v10, 0, 1, vcc_lo
	s_delay_alu instid0(VALU_DEP_2) | instskip(NEXT) | instid1(VALU_DEP_2)
	v_cndmask_b32_e32 v9, v19, v9, vcc_lo
	v_lshrrev_b64 v[7:8], v10, v[7:8]
; %bb.105:
	s_and_not1_saveexec_b32 s0, s0
; %bb.106:
	s_delay_alu instid0(VALU_DEP_1)
	v_bfe_u32 v9, v7, 23, 1
; %bb.107:
	s_or_b32 exec_lo, exec_lo, s0
	s_delay_alu instid0(VALU_DEP_2) | instskip(NEXT) | instid1(VALU_DEP_2)
	v_lshrrev_b64 v[7:8], 20, v[7:8]
	v_cmp_gt_i32_e32 vcc_lo, 16, v9
	v_cmp_ne_u32_e64 s0, 0, v9
                                        ; implicit-def: $vgpr19
	s_delay_alu instid0(VALU_DEP_3) | instskip(NEXT) | instid1(VALU_DEP_1)
	v_dual_cndmask_b32 v8, 0, v8 :: v_dual_cndmask_b32 v7, 7, v7
	v_cmp_ne_u64_e32 vcc_lo, 0, v[7:8]
	s_delay_alu instid0(VALU_DEP_3) | instskip(NEXT) | instid1(SALU_CYCLE_1)
	s_or_b32 s0, s0, vcc_lo
	s_and_saveexec_b32 s5, s0
	s_delay_alu instid0(SALU_CYCLE_1)
	s_xor_b32 s0, exec_lo, s5
; %bb.108:
	v_min_i32_e32 v8, 15, v9
	s_delay_alu instid0(VALU_DEP_1) | instskip(NEXT) | instid1(VALU_DEP_1)
	v_lshl_or_b32 v8, v8, 3, v20
                                        ; implicit-def: $vgpr20
	v_and_or_b32 v19, v7, 7, v8
; %bb.109:
	s_and_not1_saveexec_b32 s0, s0
; %bb.110:
	v_mov_b32_e32 v19, v20
; %bb.111:
	s_or_b32 exec_lo, exec_lo, s0
.LBB0_112:
	s_delay_alu instid0(SALU_CYCLE_1)
	s_or_b32 exec_lo, exec_lo, s4
.LBB0_113:
	s_and_not1_saveexec_b32 s0, s3
	s_delay_alu instid0(SALU_CYCLE_1)
	s_or_b32 exec_lo, exec_lo, s0
                                        ; implicit-def: $vgpr10
                                        ; implicit-def: $vgpr7_vgpr8
.LBB0_114:
	s_and_not1_saveexec_b32 s0, s2
; %bb.115:
	v_cmp_eq_u64_e32 vcc_lo, 0, v[7:8]
	v_or_b32_e32 v9, 0x7f, v10
	s_delay_alu instid0(VALU_DEP_1)
	v_cndmask_b32_e32 v19, v9, v19, vcc_lo
; %bb.116:
	s_or_b32 exec_lo, exec_lo, s0
	v_dual_mul_f32 v7, v14, v29 :: v_dual_mov_b32 v8, 0
	s_mov_b32 s0, 0xc3e00000
	s_delay_alu instid0(VALU_DEP_1) | instid1(SALU_CYCLE_1)
	v_maxmin_f32 v9, v7, s0, 0x43e00000
	s_mov_b32 s0, exec_lo
	s_delay_alu instid0(VALU_DEP_2) | instskip(NEXT) | instid1(VALU_DEP_2)
	v_mov_b32_e32 v31, v8
	v_lshrrev_b32_e32 v10, 24, v9
	v_and_b32_e32 v30, 0x7f800000, v9
	v_and_b32_e32 v7, 0x7fffff, v9
	s_delay_alu instid0(VALU_DEP_3) | instskip(NEXT) | instid1(VALU_DEP_1)
	v_and_b32_e32 v29, 0x80, v10
	v_or_b32_e32 v20, 0x7e, v29
	s_delay_alu instid0(VALU_DEP_4)
	v_cmpx_ne_u64_e32 0x7f800000, v[30:31]
	s_xor_b32 s2, exec_lo, s0
	s_cbranch_execz .LBB0_132
; %bb.117:
	v_dual_mov_b32 v31, v8 :: v_dual_and_b32 v30, 0x7fffffff, v9
	s_mov_b32 s0, exec_lo
	s_delay_alu instid0(VALU_DEP_1)
	v_cmpx_gt_u64_e32 0x43e00001, v[30:31]
	s_xor_b32 s3, exec_lo, s0
	s_cbranch_execz .LBB0_131
; %bb.118:
	v_mov_b32_e32 v20, 0
	s_mov_b32 s4, exec_lo
	v_cmpx_ne_u32_e32 0, v9
	s_cbranch_execz .LBB0_130
; %bb.119:
	v_bfe_u32 v20, v9, 23, 8
	v_or_b32_e32 v31, 0x800000, v7
	s_delay_alu instid0(VALU_DEP_2) | instskip(SKIP_1) | instid1(VALU_DEP_2)
	v_sub_nc_u32_e32 v9, 0x79, v20
	v_cmp_gt_u32_e32 vcc_lo, 0x7a, v20
	v_cndmask_b32_e32 v9, 0, v9, vcc_lo
	v_cmp_eq_u32_e32 vcc_lo, 0, v20
	s_delay_alu instid0(VALU_DEP_2) | instskip(SKIP_1) | instid1(VALU_DEP_2)
	v_cndmask_b32_e64 v30, v9, 0x78, vcc_lo
	v_cndmask_b32_e32 v7, v31, v7, vcc_lo
	v_add_nc_u32_e32 v9, 20, v30
	v_add_nc_u32_e32 v31, 19, v30
	s_delay_alu instid0(VALU_DEP_2) | instskip(NEXT) | instid1(VALU_DEP_1)
	v_lshlrev_b64 v[9:10], v9, -1
	v_not_b32_e32 v33, v9
	s_delay_alu instid0(VALU_DEP_2) | instskip(NEXT) | instid1(VALU_DEP_4)
	v_not_b32_e32 v32, v10
	v_lshlrev_b64 v[9:10], v31, 1
	s_delay_alu instid0(VALU_DEP_3) | instskip(SKIP_1) | instid1(VALU_DEP_4)
	v_and_b32_e32 v31, v7, v33
	v_lshrrev_b64 v[7:8], v30, v[7:8]
	v_and_b32_e32 v32, 0, v32
	s_delay_alu instid0(VALU_DEP_1) | instskip(NEXT) | instid1(VALU_DEP_3)
	v_cmp_eq_u64_e64 s0, v[31:32], v[9:10]
	v_dual_mov_b32 v10, v8 :: v_dual_mov_b32 v9, v7
	s_delay_alu instid0(VALU_DEP_2)
	s_and_saveexec_b32 s5, s0
; %bb.120:
	v_bfe_u32 v9, v7, 20, 1
	s_delay_alu instid0(VALU_DEP_1) | instskip(NEXT) | instid1(VALU_DEP_1)
	v_add_co_u32 v9, s0, v7, v9
	v_add_co_u32 v9, s0, v9, -1
; %bb.121:
	s_or_b32 exec_lo, exec_lo, s5
	v_add_nc_u32_e32 v10, 0xffffff81, v20
	v_lshrrev_b32_e32 v20, 23, v7
	s_delay_alu instid0(VALU_DEP_3) | instskip(SKIP_1) | instid1(VALU_DEP_3)
	v_and_b32_e32 v9, 0xfffff, v9
	s_mov_b32 s0, exec_lo
	v_cndmask_b32_e64 v10, v10, 0xffffff82, vcc_lo
	s_delay_alu instid0(VALU_DEP_2) | instskip(SKIP_1) | instid1(VALU_DEP_3)
	v_add_co_u32 v7, vcc_lo, v9, v7
	v_add_co_ci_u32_e32 v8, vcc_lo, 0, v8, vcc_lo
	v_add3_u32 v10, v30, v10, v20
                                        ; implicit-def: $vgpr9
	s_delay_alu instid0(VALU_DEP_1) | instskip(NEXT) | instid1(VALU_DEP_1)
	v_add_nc_u32_e32 v20, 6, v10
	v_cmpx_ne_u32_e32 0, v20
	s_xor_b32 s0, exec_lo, s0
; %bb.122:
	v_cmp_lt_u64_e32 vcc_lo, 0xffffff, v[7:8]
	v_add_nc_u32_e32 v9, 7, v10
	v_cndmask_b32_e64 v10, 0, 1, vcc_lo
	s_delay_alu instid0(VALU_DEP_2) | instskip(NEXT) | instid1(VALU_DEP_2)
	v_cndmask_b32_e32 v9, v20, v9, vcc_lo
	v_lshrrev_b64 v[7:8], v10, v[7:8]
; %bb.123:
	s_and_not1_saveexec_b32 s0, s0
; %bb.124:
	s_delay_alu instid0(VALU_DEP_1)
	v_bfe_u32 v9, v7, 23, 1
; %bb.125:
	s_or_b32 exec_lo, exec_lo, s0
	s_delay_alu instid0(VALU_DEP_2) | instskip(NEXT) | instid1(VALU_DEP_2)
	v_lshrrev_b64 v[7:8], 20, v[7:8]
	v_cmp_gt_i32_e32 vcc_lo, 16, v9
	v_cmp_ne_u32_e64 s0, 0, v9
                                        ; implicit-def: $vgpr20
	s_delay_alu instid0(VALU_DEP_3) | instskip(NEXT) | instid1(VALU_DEP_1)
	v_dual_cndmask_b32 v8, 0, v8 :: v_dual_cndmask_b32 v7, 7, v7
	v_cmp_ne_u64_e32 vcc_lo, 0, v[7:8]
	s_delay_alu instid0(VALU_DEP_3) | instskip(NEXT) | instid1(SALU_CYCLE_1)
	s_or_b32 s0, s0, vcc_lo
	s_and_saveexec_b32 s5, s0
	s_delay_alu instid0(SALU_CYCLE_1)
	s_xor_b32 s0, exec_lo, s5
; %bb.126:
	v_min_i32_e32 v8, 15, v9
	s_delay_alu instid0(VALU_DEP_1) | instskip(NEXT) | instid1(VALU_DEP_1)
	v_lshl_or_b32 v8, v8, 3, v29
                                        ; implicit-def: $vgpr29
	v_and_or_b32 v20, v7, 7, v8
; %bb.127:
	s_and_not1_saveexec_b32 s0, s0
; %bb.128:
	v_mov_b32_e32 v20, v29
; %bb.129:
	s_or_b32 exec_lo, exec_lo, s0
.LBB0_130:
	s_delay_alu instid0(SALU_CYCLE_1)
	s_or_b32 exec_lo, exec_lo, s4
.LBB0_131:
	s_and_not1_saveexec_b32 s0, s3
	s_delay_alu instid0(SALU_CYCLE_1)
	s_or_b32 exec_lo, exec_lo, s0
                                        ; implicit-def: $vgpr10
                                        ; implicit-def: $vgpr7_vgpr8
.LBB0_132:
	s_and_not1_saveexec_b32 s0, s2
; %bb.133:
	v_cmp_eq_u64_e32 vcc_lo, 0, v[7:8]
	v_or_b32_e32 v9, 0x7f, v10
	s_delay_alu instid0(VALU_DEP_1)
	v_cndmask_b32_e32 v20, v9, v20, vcc_lo
; %bb.134:
	s_or_b32 exec_lo, exec_lo, s0
	v_dual_mul_f32 v7, v14, v25 :: v_dual_mov_b32 v8, 0
	s_mov_b32 s0, 0xc3e00000
	s_delay_alu instid0(VALU_DEP_1) | instid1(SALU_CYCLE_1)
	v_maxmin_f32 v9, v7, s0, 0x43e00000
	s_mov_b32 s0, exec_lo
	s_delay_alu instid0(VALU_DEP_2) | instskip(NEXT) | instid1(VALU_DEP_2)
	v_mov_b32_e32 v31, v8
	v_lshrrev_b32_e32 v10, 24, v9
	v_and_b32_e32 v30, 0x7f800000, v9
	v_and_b32_e32 v7, 0x7fffff, v9
	s_delay_alu instid0(VALU_DEP_3) | instskip(NEXT) | instid1(VALU_DEP_1)
	v_and_b32_e32 v29, 0x80, v10
	v_or_b32_e32 v25, 0x7e, v29
	s_delay_alu instid0(VALU_DEP_4)
	v_cmpx_ne_u64_e32 0x7f800000, v[30:31]
	s_xor_b32 s2, exec_lo, s0
	s_cbranch_execz .LBB0_150
; %bb.135:
	v_dual_mov_b32 v31, v8 :: v_dual_and_b32 v30, 0x7fffffff, v9
	s_mov_b32 s0, exec_lo
	s_delay_alu instid0(VALU_DEP_1)
	v_cmpx_gt_u64_e32 0x43e00001, v[30:31]
	s_xor_b32 s3, exec_lo, s0
	s_cbranch_execz .LBB0_149
; %bb.136:
	v_mov_b32_e32 v25, 0
	s_mov_b32 s4, exec_lo
	v_cmpx_ne_u32_e32 0, v9
	s_cbranch_execz .LBB0_148
; %bb.137:
	v_bfe_u32 v25, v9, 23, 8
	v_or_b32_e32 v31, 0x800000, v7
	s_delay_alu instid0(VALU_DEP_2) | instskip(SKIP_1) | instid1(VALU_DEP_2)
	v_sub_nc_u32_e32 v9, 0x79, v25
	v_cmp_gt_u32_e32 vcc_lo, 0x7a, v25
	v_cndmask_b32_e32 v9, 0, v9, vcc_lo
	v_cmp_eq_u32_e32 vcc_lo, 0, v25
	s_delay_alu instid0(VALU_DEP_2) | instskip(SKIP_1) | instid1(VALU_DEP_2)
	v_cndmask_b32_e64 v30, v9, 0x78, vcc_lo
	v_cndmask_b32_e32 v7, v31, v7, vcc_lo
	v_add_nc_u32_e32 v9, 20, v30
	v_add_nc_u32_e32 v31, 19, v30
	s_delay_alu instid0(VALU_DEP_2) | instskip(NEXT) | instid1(VALU_DEP_1)
	v_lshlrev_b64 v[9:10], v9, -1
	v_not_b32_e32 v33, v9
	s_delay_alu instid0(VALU_DEP_2) | instskip(NEXT) | instid1(VALU_DEP_4)
	v_not_b32_e32 v32, v10
	v_lshlrev_b64 v[9:10], v31, 1
	s_delay_alu instid0(VALU_DEP_3) | instskip(SKIP_1) | instid1(VALU_DEP_4)
	v_and_b32_e32 v31, v7, v33
	v_lshrrev_b64 v[7:8], v30, v[7:8]
	v_and_b32_e32 v32, 0, v32
	s_delay_alu instid0(VALU_DEP_1) | instskip(NEXT) | instid1(VALU_DEP_3)
	v_cmp_eq_u64_e64 s0, v[31:32], v[9:10]
	v_dual_mov_b32 v10, v8 :: v_dual_mov_b32 v9, v7
	s_delay_alu instid0(VALU_DEP_2)
	s_and_saveexec_b32 s5, s0
; %bb.138:
	v_bfe_u32 v9, v7, 20, 1
	s_delay_alu instid0(VALU_DEP_1) | instskip(NEXT) | instid1(VALU_DEP_1)
	v_add_co_u32 v9, s0, v7, v9
	v_add_co_u32 v9, s0, v9, -1
; %bb.139:
	s_or_b32 exec_lo, exec_lo, s5
	v_add_nc_u32_e32 v10, 0xffffff81, v25
	v_lshrrev_b32_e32 v25, 23, v7
	s_delay_alu instid0(VALU_DEP_3) | instskip(SKIP_1) | instid1(VALU_DEP_3)
	v_and_b32_e32 v9, 0xfffff, v9
	s_mov_b32 s0, exec_lo
	v_cndmask_b32_e64 v10, v10, 0xffffff82, vcc_lo
	s_delay_alu instid0(VALU_DEP_2) | instskip(SKIP_1) | instid1(VALU_DEP_3)
	v_add_co_u32 v7, vcc_lo, v9, v7
	v_add_co_ci_u32_e32 v8, vcc_lo, 0, v8, vcc_lo
	v_add3_u32 v10, v30, v10, v25
                                        ; implicit-def: $vgpr9
	s_delay_alu instid0(VALU_DEP_1) | instskip(NEXT) | instid1(VALU_DEP_1)
	v_add_nc_u32_e32 v25, 6, v10
	v_cmpx_ne_u32_e32 0, v25
	s_xor_b32 s0, exec_lo, s0
; %bb.140:
	v_cmp_lt_u64_e32 vcc_lo, 0xffffff, v[7:8]
	v_add_nc_u32_e32 v9, 7, v10
	v_cndmask_b32_e64 v10, 0, 1, vcc_lo
	s_delay_alu instid0(VALU_DEP_2) | instskip(NEXT) | instid1(VALU_DEP_2)
	v_cndmask_b32_e32 v9, v25, v9, vcc_lo
	v_lshrrev_b64 v[7:8], v10, v[7:8]
; %bb.141:
	s_and_not1_saveexec_b32 s0, s0
; %bb.142:
	s_delay_alu instid0(VALU_DEP_1)
	v_bfe_u32 v9, v7, 23, 1
; %bb.143:
	s_or_b32 exec_lo, exec_lo, s0
	s_delay_alu instid0(VALU_DEP_2) | instskip(NEXT) | instid1(VALU_DEP_2)
	v_lshrrev_b64 v[7:8], 20, v[7:8]
	v_cmp_gt_i32_e32 vcc_lo, 16, v9
	v_cmp_ne_u32_e64 s0, 0, v9
                                        ; implicit-def: $vgpr25
	s_delay_alu instid0(VALU_DEP_3) | instskip(NEXT) | instid1(VALU_DEP_1)
	v_dual_cndmask_b32 v8, 0, v8 :: v_dual_cndmask_b32 v7, 7, v7
	v_cmp_ne_u64_e32 vcc_lo, 0, v[7:8]
	s_delay_alu instid0(VALU_DEP_3) | instskip(NEXT) | instid1(SALU_CYCLE_1)
	s_or_b32 s0, s0, vcc_lo
	s_and_saveexec_b32 s5, s0
	s_delay_alu instid0(SALU_CYCLE_1)
	s_xor_b32 s0, exec_lo, s5
; %bb.144:
	v_min_i32_e32 v8, 15, v9
	s_delay_alu instid0(VALU_DEP_1) | instskip(NEXT) | instid1(VALU_DEP_1)
	v_lshl_or_b32 v8, v8, 3, v29
                                        ; implicit-def: $vgpr29
	v_and_or_b32 v25, v7, 7, v8
; %bb.145:
	s_and_not1_saveexec_b32 s0, s0
; %bb.146:
	v_mov_b32_e32 v25, v29
; %bb.147:
	s_or_b32 exec_lo, exec_lo, s0
.LBB0_148:
	s_delay_alu instid0(SALU_CYCLE_1)
	s_or_b32 exec_lo, exec_lo, s4
.LBB0_149:
	s_and_not1_saveexec_b32 s0, s3
	s_delay_alu instid0(SALU_CYCLE_1)
	s_or_b32 exec_lo, exec_lo, s0
                                        ; implicit-def: $vgpr10
                                        ; implicit-def: $vgpr7_vgpr8
.LBB0_150:
	s_and_not1_saveexec_b32 s0, s2
; %bb.151:
	v_cmp_eq_u64_e32 vcc_lo, 0, v[7:8]
	v_or_b32_e32 v9, 0x7f, v10
	s_delay_alu instid0(VALU_DEP_1)
	v_cndmask_b32_e32 v25, v9, v25, vcc_lo
; %bb.152:
	s_or_b32 exec_lo, exec_lo, s0
	v_dual_mul_f32 v7, v14, v27 :: v_dual_mov_b32 v8, 0
	s_mov_b32 s0, 0xc3e00000
	s_delay_alu instid0(VALU_DEP_1) | instid1(SALU_CYCLE_1)
	v_maxmin_f32 v9, v7, s0, 0x43e00000
	s_mov_b32 s0, exec_lo
	s_delay_alu instid0(VALU_DEP_2) | instskip(NEXT) | instid1(VALU_DEP_2)
	v_mov_b32_e32 v31, v8
	v_lshrrev_b32_e32 v10, 24, v9
	v_and_b32_e32 v30, 0x7f800000, v9
	v_and_b32_e32 v7, 0x7fffff, v9
	s_delay_alu instid0(VALU_DEP_3) | instskip(NEXT) | instid1(VALU_DEP_1)
	v_and_b32_e32 v29, 0x80, v10
	v_or_b32_e32 v27, 0x7e, v29
	s_delay_alu instid0(VALU_DEP_4)
	v_cmpx_ne_u64_e32 0x7f800000, v[30:31]
	s_xor_b32 s2, exec_lo, s0
	s_cbranch_execz .LBB0_168
; %bb.153:
	v_dual_mov_b32 v31, v8 :: v_dual_and_b32 v30, 0x7fffffff, v9
	s_mov_b32 s0, exec_lo
	s_delay_alu instid0(VALU_DEP_1)
	v_cmpx_gt_u64_e32 0x43e00001, v[30:31]
	s_xor_b32 s3, exec_lo, s0
	s_cbranch_execz .LBB0_167
; %bb.154:
	v_mov_b32_e32 v27, 0
	s_mov_b32 s4, exec_lo
	v_cmpx_ne_u32_e32 0, v9
	s_cbranch_execz .LBB0_166
; %bb.155:
	v_bfe_u32 v27, v9, 23, 8
	v_or_b32_e32 v31, 0x800000, v7
	s_delay_alu instid0(VALU_DEP_2) | instskip(SKIP_1) | instid1(VALU_DEP_2)
	v_sub_nc_u32_e32 v9, 0x79, v27
	v_cmp_gt_u32_e32 vcc_lo, 0x7a, v27
	v_cndmask_b32_e32 v9, 0, v9, vcc_lo
	v_cmp_eq_u32_e32 vcc_lo, 0, v27
	s_delay_alu instid0(VALU_DEP_2) | instskip(SKIP_1) | instid1(VALU_DEP_2)
	v_cndmask_b32_e64 v30, v9, 0x78, vcc_lo
	v_cndmask_b32_e32 v7, v31, v7, vcc_lo
	v_add_nc_u32_e32 v9, 20, v30
	v_add_nc_u32_e32 v31, 19, v30
	s_delay_alu instid0(VALU_DEP_2) | instskip(NEXT) | instid1(VALU_DEP_1)
	v_lshlrev_b64 v[9:10], v9, -1
	v_not_b32_e32 v33, v9
	s_delay_alu instid0(VALU_DEP_2) | instskip(NEXT) | instid1(VALU_DEP_4)
	v_not_b32_e32 v32, v10
	v_lshlrev_b64 v[9:10], v31, 1
	s_delay_alu instid0(VALU_DEP_3) | instskip(SKIP_1) | instid1(VALU_DEP_4)
	v_and_b32_e32 v31, v7, v33
	v_lshrrev_b64 v[7:8], v30, v[7:8]
	v_and_b32_e32 v32, 0, v32
	s_delay_alu instid0(VALU_DEP_1) | instskip(NEXT) | instid1(VALU_DEP_3)
	v_cmp_eq_u64_e64 s0, v[31:32], v[9:10]
	v_dual_mov_b32 v10, v8 :: v_dual_mov_b32 v9, v7
	s_delay_alu instid0(VALU_DEP_2)
	s_and_saveexec_b32 s5, s0
; %bb.156:
	v_bfe_u32 v9, v7, 20, 1
	s_delay_alu instid0(VALU_DEP_1) | instskip(NEXT) | instid1(VALU_DEP_1)
	v_add_co_u32 v9, s0, v7, v9
	v_add_co_u32 v9, s0, v9, -1
; %bb.157:
	s_or_b32 exec_lo, exec_lo, s5
	v_add_nc_u32_e32 v10, 0xffffff81, v27
	v_lshrrev_b32_e32 v27, 23, v7
	s_delay_alu instid0(VALU_DEP_3) | instskip(SKIP_1) | instid1(VALU_DEP_3)
	v_and_b32_e32 v9, 0xfffff, v9
	s_mov_b32 s0, exec_lo
	v_cndmask_b32_e64 v10, v10, 0xffffff82, vcc_lo
	s_delay_alu instid0(VALU_DEP_2) | instskip(SKIP_1) | instid1(VALU_DEP_3)
	v_add_co_u32 v7, vcc_lo, v9, v7
	v_add_co_ci_u32_e32 v8, vcc_lo, 0, v8, vcc_lo
	v_add3_u32 v10, v30, v10, v27
                                        ; implicit-def: $vgpr9
	s_delay_alu instid0(VALU_DEP_1) | instskip(NEXT) | instid1(VALU_DEP_1)
	v_add_nc_u32_e32 v27, 6, v10
	v_cmpx_ne_u32_e32 0, v27
	s_xor_b32 s0, exec_lo, s0
; %bb.158:
	v_cmp_lt_u64_e32 vcc_lo, 0xffffff, v[7:8]
	v_add_nc_u32_e32 v9, 7, v10
	v_cndmask_b32_e64 v10, 0, 1, vcc_lo
	s_delay_alu instid0(VALU_DEP_2) | instskip(NEXT) | instid1(VALU_DEP_2)
	v_cndmask_b32_e32 v9, v27, v9, vcc_lo
	v_lshrrev_b64 v[7:8], v10, v[7:8]
; %bb.159:
	s_and_not1_saveexec_b32 s0, s0
; %bb.160:
	s_delay_alu instid0(VALU_DEP_1)
	v_bfe_u32 v9, v7, 23, 1
; %bb.161:
	s_or_b32 exec_lo, exec_lo, s0
	s_delay_alu instid0(VALU_DEP_2) | instskip(NEXT) | instid1(VALU_DEP_2)
	v_lshrrev_b64 v[7:8], 20, v[7:8]
	v_cmp_gt_i32_e32 vcc_lo, 16, v9
	v_cmp_ne_u32_e64 s0, 0, v9
                                        ; implicit-def: $vgpr27
	s_delay_alu instid0(VALU_DEP_3) | instskip(NEXT) | instid1(VALU_DEP_1)
	v_dual_cndmask_b32 v8, 0, v8 :: v_dual_cndmask_b32 v7, 7, v7
	v_cmp_ne_u64_e32 vcc_lo, 0, v[7:8]
	s_delay_alu instid0(VALU_DEP_3) | instskip(NEXT) | instid1(SALU_CYCLE_1)
	s_or_b32 s0, s0, vcc_lo
	s_and_saveexec_b32 s5, s0
	s_delay_alu instid0(SALU_CYCLE_1)
	s_xor_b32 s0, exec_lo, s5
; %bb.162:
	v_min_i32_e32 v8, 15, v9
	s_delay_alu instid0(VALU_DEP_1) | instskip(NEXT) | instid1(VALU_DEP_1)
	v_lshl_or_b32 v8, v8, 3, v29
                                        ; implicit-def: $vgpr29
	v_and_or_b32 v27, v7, 7, v8
; %bb.163:
	s_and_not1_saveexec_b32 s0, s0
; %bb.164:
	v_mov_b32_e32 v27, v29
; %bb.165:
	s_or_b32 exec_lo, exec_lo, s0
.LBB0_166:
	s_delay_alu instid0(SALU_CYCLE_1)
	s_or_b32 exec_lo, exec_lo, s4
.LBB0_167:
	s_and_not1_saveexec_b32 s0, s3
	s_delay_alu instid0(SALU_CYCLE_1)
	s_or_b32 exec_lo, exec_lo, s0
                                        ; implicit-def: $vgpr10
                                        ; implicit-def: $vgpr7_vgpr8
.LBB0_168:
	s_and_not1_saveexec_b32 s0, s2
; %bb.169:
	v_cmp_eq_u64_e32 vcc_lo, 0, v[7:8]
	v_or_b32_e32 v9, 0x7f, v10
	s_delay_alu instid0(VALU_DEP_1)
	v_cndmask_b32_e32 v27, v9, v27, vcc_lo
; %bb.170:
	s_or_b32 exec_lo, exec_lo, s0
	v_dual_mul_f32 v7, v14, v28 :: v_dual_mov_b32 v8, 0
	s_mov_b32 s0, 0xc3e00000
	s_delay_alu instid0(VALU_DEP_1) | instid1(SALU_CYCLE_1)
	v_maxmin_f32 v9, v7, s0, 0x43e00000
	s_mov_b32 s0, exec_lo
	s_delay_alu instid0(VALU_DEP_2) | instskip(NEXT) | instid1(VALU_DEP_2)
	v_mov_b32_e32 v31, v8
	v_lshrrev_b32_e32 v10, 24, v9
	v_and_b32_e32 v30, 0x7f800000, v9
	v_and_b32_e32 v7, 0x7fffff, v9
	s_delay_alu instid0(VALU_DEP_3) | instskip(NEXT) | instid1(VALU_DEP_1)
	v_and_b32_e32 v29, 0x80, v10
	v_or_b32_e32 v28, 0x7e, v29
	s_delay_alu instid0(VALU_DEP_4)
	v_cmpx_ne_u64_e32 0x7f800000, v[30:31]
	s_xor_b32 s2, exec_lo, s0
	s_cbranch_execz .LBB0_186
; %bb.171:
	v_dual_mov_b32 v31, v8 :: v_dual_and_b32 v30, 0x7fffffff, v9
	s_mov_b32 s0, exec_lo
	s_delay_alu instid0(VALU_DEP_1)
	v_cmpx_gt_u64_e32 0x43e00001, v[30:31]
	s_xor_b32 s3, exec_lo, s0
	s_cbranch_execz .LBB0_185
; %bb.172:
	v_mov_b32_e32 v28, 0
	s_mov_b32 s4, exec_lo
	v_cmpx_ne_u32_e32 0, v9
	s_cbranch_execz .LBB0_184
; %bb.173:
	v_bfe_u32 v28, v9, 23, 8
	v_or_b32_e32 v31, 0x800000, v7
	s_delay_alu instid0(VALU_DEP_2) | instskip(SKIP_1) | instid1(VALU_DEP_2)
	v_sub_nc_u32_e32 v9, 0x79, v28
	v_cmp_gt_u32_e32 vcc_lo, 0x7a, v28
	v_cndmask_b32_e32 v9, 0, v9, vcc_lo
	v_cmp_eq_u32_e32 vcc_lo, 0, v28
	s_delay_alu instid0(VALU_DEP_2) | instskip(SKIP_1) | instid1(VALU_DEP_2)
	v_cndmask_b32_e64 v30, v9, 0x78, vcc_lo
	v_cndmask_b32_e32 v7, v31, v7, vcc_lo
	v_add_nc_u32_e32 v9, 20, v30
	v_add_nc_u32_e32 v31, 19, v30
	s_delay_alu instid0(VALU_DEP_2) | instskip(NEXT) | instid1(VALU_DEP_1)
	v_lshlrev_b64 v[9:10], v9, -1
	v_not_b32_e32 v33, v9
	s_delay_alu instid0(VALU_DEP_2) | instskip(NEXT) | instid1(VALU_DEP_4)
	v_not_b32_e32 v32, v10
	v_lshlrev_b64 v[9:10], v31, 1
	s_delay_alu instid0(VALU_DEP_3) | instskip(SKIP_1) | instid1(VALU_DEP_4)
	v_and_b32_e32 v31, v7, v33
	v_lshrrev_b64 v[7:8], v30, v[7:8]
	v_and_b32_e32 v32, 0, v32
	s_delay_alu instid0(VALU_DEP_1) | instskip(NEXT) | instid1(VALU_DEP_3)
	v_cmp_eq_u64_e64 s0, v[31:32], v[9:10]
	v_dual_mov_b32 v10, v8 :: v_dual_mov_b32 v9, v7
	s_delay_alu instid0(VALU_DEP_2)
	s_and_saveexec_b32 s5, s0
; %bb.174:
	v_bfe_u32 v9, v7, 20, 1
	s_delay_alu instid0(VALU_DEP_1) | instskip(NEXT) | instid1(VALU_DEP_1)
	v_add_co_u32 v9, s0, v7, v9
	v_add_co_u32 v9, s0, v9, -1
; %bb.175:
	s_or_b32 exec_lo, exec_lo, s5
	v_add_nc_u32_e32 v10, 0xffffff81, v28
	v_lshrrev_b32_e32 v28, 23, v7
	s_delay_alu instid0(VALU_DEP_3) | instskip(SKIP_1) | instid1(VALU_DEP_3)
	v_and_b32_e32 v9, 0xfffff, v9
	s_mov_b32 s0, exec_lo
	v_cndmask_b32_e64 v10, v10, 0xffffff82, vcc_lo
	s_delay_alu instid0(VALU_DEP_2) | instskip(SKIP_1) | instid1(VALU_DEP_3)
	v_add_co_u32 v7, vcc_lo, v9, v7
	v_add_co_ci_u32_e32 v8, vcc_lo, 0, v8, vcc_lo
	v_add3_u32 v10, v30, v10, v28
                                        ; implicit-def: $vgpr9
	s_delay_alu instid0(VALU_DEP_1) | instskip(NEXT) | instid1(VALU_DEP_1)
	v_add_nc_u32_e32 v28, 6, v10
	v_cmpx_ne_u32_e32 0, v28
	s_xor_b32 s0, exec_lo, s0
; %bb.176:
	v_cmp_lt_u64_e32 vcc_lo, 0xffffff, v[7:8]
	v_add_nc_u32_e32 v9, 7, v10
	v_cndmask_b32_e64 v10, 0, 1, vcc_lo
	s_delay_alu instid0(VALU_DEP_2) | instskip(NEXT) | instid1(VALU_DEP_2)
	v_cndmask_b32_e32 v9, v28, v9, vcc_lo
	v_lshrrev_b64 v[7:8], v10, v[7:8]
; %bb.177:
	s_and_not1_saveexec_b32 s0, s0
; %bb.178:
	s_delay_alu instid0(VALU_DEP_1)
	v_bfe_u32 v9, v7, 23, 1
; %bb.179:
	s_or_b32 exec_lo, exec_lo, s0
	s_delay_alu instid0(VALU_DEP_2) | instskip(NEXT) | instid1(VALU_DEP_2)
	v_lshrrev_b64 v[7:8], 20, v[7:8]
	v_cmp_gt_i32_e32 vcc_lo, 16, v9
	v_cmp_ne_u32_e64 s0, 0, v9
                                        ; implicit-def: $vgpr28
	s_delay_alu instid0(VALU_DEP_3) | instskip(NEXT) | instid1(VALU_DEP_1)
	v_dual_cndmask_b32 v8, 0, v8 :: v_dual_cndmask_b32 v7, 7, v7
	v_cmp_ne_u64_e32 vcc_lo, 0, v[7:8]
	s_delay_alu instid0(VALU_DEP_3) | instskip(NEXT) | instid1(SALU_CYCLE_1)
	s_or_b32 s0, s0, vcc_lo
	s_and_saveexec_b32 s5, s0
	s_delay_alu instid0(SALU_CYCLE_1)
	s_xor_b32 s0, exec_lo, s5
; %bb.180:
	v_min_i32_e32 v8, 15, v9
	s_delay_alu instid0(VALU_DEP_1) | instskip(NEXT) | instid1(VALU_DEP_1)
	v_lshl_or_b32 v8, v8, 3, v29
                                        ; implicit-def: $vgpr29
	v_and_or_b32 v28, v7, 7, v8
; %bb.181:
	s_and_not1_saveexec_b32 s0, s0
; %bb.182:
	v_mov_b32_e32 v28, v29
; %bb.183:
	s_or_b32 exec_lo, exec_lo, s0
.LBB0_184:
	s_delay_alu instid0(SALU_CYCLE_1)
	s_or_b32 exec_lo, exec_lo, s4
.LBB0_185:
	s_and_not1_saveexec_b32 s0, s3
	s_delay_alu instid0(SALU_CYCLE_1)
	s_or_b32 exec_lo, exec_lo, s0
                                        ; implicit-def: $vgpr10
                                        ; implicit-def: $vgpr7_vgpr8
.LBB0_186:
	s_and_not1_saveexec_b32 s0, s2
; %bb.187:
	v_cmp_eq_u64_e32 vcc_lo, 0, v[7:8]
	v_or_b32_e32 v9, 0x7f, v10
	s_delay_alu instid0(VALU_DEP_1)
	v_cndmask_b32_e32 v28, v9, v28, vcc_lo
; %bb.188:
	s_or_b32 exec_lo, exec_lo, s0
	v_dual_mul_f32 v7, v14, v26 :: v_dual_mov_b32 v8, 0
	s_mov_b32 s0, 0xc3e00000
	s_delay_alu instid0(VALU_DEP_1) | instid1(SALU_CYCLE_1)
	v_maxmin_f32 v9, v7, s0, 0x43e00000
	s_mov_b32 s0, exec_lo
	s_delay_alu instid0(VALU_DEP_2) | instskip(NEXT) | instid1(VALU_DEP_2)
	v_mov_b32_e32 v31, v8
	v_lshrrev_b32_e32 v10, 24, v9
	v_and_b32_e32 v30, 0x7f800000, v9
	v_and_b32_e32 v7, 0x7fffff, v9
	s_delay_alu instid0(VALU_DEP_3) | instskip(NEXT) | instid1(VALU_DEP_1)
	v_and_b32_e32 v29, 0x80, v10
	v_or_b32_e32 v26, 0x7e, v29
	s_delay_alu instid0(VALU_DEP_4)
	v_cmpx_ne_u64_e32 0x7f800000, v[30:31]
	s_xor_b32 s2, exec_lo, s0
	s_cbranch_execz .LBB0_204
; %bb.189:
	v_dual_mov_b32 v31, v8 :: v_dual_and_b32 v30, 0x7fffffff, v9
	s_mov_b32 s0, exec_lo
	s_delay_alu instid0(VALU_DEP_1)
	v_cmpx_gt_u64_e32 0x43e00001, v[30:31]
	s_xor_b32 s3, exec_lo, s0
	s_cbranch_execz .LBB0_203
; %bb.190:
	v_mov_b32_e32 v26, 0
	s_mov_b32 s4, exec_lo
	v_cmpx_ne_u32_e32 0, v9
	s_cbranch_execz .LBB0_202
; %bb.191:
	v_bfe_u32 v26, v9, 23, 8
	v_or_b32_e32 v31, 0x800000, v7
	s_delay_alu instid0(VALU_DEP_2) | instskip(SKIP_1) | instid1(VALU_DEP_2)
	v_sub_nc_u32_e32 v9, 0x79, v26
	v_cmp_gt_u32_e32 vcc_lo, 0x7a, v26
	v_cndmask_b32_e32 v9, 0, v9, vcc_lo
	v_cmp_eq_u32_e32 vcc_lo, 0, v26
	s_delay_alu instid0(VALU_DEP_2) | instskip(SKIP_1) | instid1(VALU_DEP_2)
	v_cndmask_b32_e64 v30, v9, 0x78, vcc_lo
	v_cndmask_b32_e32 v7, v31, v7, vcc_lo
	v_add_nc_u32_e32 v9, 20, v30
	v_add_nc_u32_e32 v31, 19, v30
	s_delay_alu instid0(VALU_DEP_2) | instskip(NEXT) | instid1(VALU_DEP_1)
	v_lshlrev_b64 v[9:10], v9, -1
	v_not_b32_e32 v33, v9
	s_delay_alu instid0(VALU_DEP_2) | instskip(NEXT) | instid1(VALU_DEP_4)
	v_not_b32_e32 v32, v10
	v_lshlrev_b64 v[9:10], v31, 1
	s_delay_alu instid0(VALU_DEP_3) | instskip(SKIP_1) | instid1(VALU_DEP_4)
	v_and_b32_e32 v31, v7, v33
	v_lshrrev_b64 v[7:8], v30, v[7:8]
	v_and_b32_e32 v32, 0, v32
	s_delay_alu instid0(VALU_DEP_1) | instskip(NEXT) | instid1(VALU_DEP_3)
	v_cmp_eq_u64_e64 s0, v[31:32], v[9:10]
	v_dual_mov_b32 v10, v8 :: v_dual_mov_b32 v9, v7
	s_delay_alu instid0(VALU_DEP_2)
	s_and_saveexec_b32 s5, s0
; %bb.192:
	v_bfe_u32 v9, v7, 20, 1
	s_delay_alu instid0(VALU_DEP_1) | instskip(NEXT) | instid1(VALU_DEP_1)
	v_add_co_u32 v9, s0, v7, v9
	v_add_co_u32 v9, s0, v9, -1
; %bb.193:
	s_or_b32 exec_lo, exec_lo, s5
	v_add_nc_u32_e32 v10, 0xffffff81, v26
	v_lshrrev_b32_e32 v26, 23, v7
	s_delay_alu instid0(VALU_DEP_3) | instskip(SKIP_1) | instid1(VALU_DEP_3)
	v_and_b32_e32 v9, 0xfffff, v9
	s_mov_b32 s0, exec_lo
	v_cndmask_b32_e64 v10, v10, 0xffffff82, vcc_lo
	s_delay_alu instid0(VALU_DEP_2) | instskip(SKIP_1) | instid1(VALU_DEP_3)
	v_add_co_u32 v7, vcc_lo, v9, v7
	v_add_co_ci_u32_e32 v8, vcc_lo, 0, v8, vcc_lo
	v_add3_u32 v10, v30, v10, v26
                                        ; implicit-def: $vgpr9
	s_delay_alu instid0(VALU_DEP_1) | instskip(NEXT) | instid1(VALU_DEP_1)
	v_add_nc_u32_e32 v26, 6, v10
	v_cmpx_ne_u32_e32 0, v26
	s_xor_b32 s0, exec_lo, s0
; %bb.194:
	v_cmp_lt_u64_e32 vcc_lo, 0xffffff, v[7:8]
	v_add_nc_u32_e32 v9, 7, v10
	v_cndmask_b32_e64 v10, 0, 1, vcc_lo
	s_delay_alu instid0(VALU_DEP_2) | instskip(NEXT) | instid1(VALU_DEP_2)
	v_cndmask_b32_e32 v9, v26, v9, vcc_lo
	v_lshrrev_b64 v[7:8], v10, v[7:8]
; %bb.195:
	s_and_not1_saveexec_b32 s0, s0
; %bb.196:
	s_delay_alu instid0(VALU_DEP_1)
	v_bfe_u32 v9, v7, 23, 1
; %bb.197:
	s_or_b32 exec_lo, exec_lo, s0
	s_delay_alu instid0(VALU_DEP_2) | instskip(NEXT) | instid1(VALU_DEP_2)
	v_lshrrev_b64 v[7:8], 20, v[7:8]
	v_cmp_gt_i32_e32 vcc_lo, 16, v9
	v_cmp_ne_u32_e64 s0, 0, v9
                                        ; implicit-def: $vgpr26
	s_delay_alu instid0(VALU_DEP_3) | instskip(NEXT) | instid1(VALU_DEP_1)
	v_dual_cndmask_b32 v8, 0, v8 :: v_dual_cndmask_b32 v7, 7, v7
	v_cmp_ne_u64_e32 vcc_lo, 0, v[7:8]
	s_delay_alu instid0(VALU_DEP_3) | instskip(NEXT) | instid1(SALU_CYCLE_1)
	s_or_b32 s0, s0, vcc_lo
	s_and_saveexec_b32 s5, s0
	s_delay_alu instid0(SALU_CYCLE_1)
	s_xor_b32 s0, exec_lo, s5
; %bb.198:
	v_min_i32_e32 v8, 15, v9
	s_delay_alu instid0(VALU_DEP_1) | instskip(NEXT) | instid1(VALU_DEP_1)
	v_lshl_or_b32 v8, v8, 3, v29
                                        ; implicit-def: $vgpr29
	v_and_or_b32 v26, v7, 7, v8
; %bb.199:
	s_and_not1_saveexec_b32 s0, s0
; %bb.200:
	v_mov_b32_e32 v26, v29
; %bb.201:
	s_or_b32 exec_lo, exec_lo, s0
.LBB0_202:
	s_delay_alu instid0(SALU_CYCLE_1)
	s_or_b32 exec_lo, exec_lo, s4
.LBB0_203:
	s_and_not1_saveexec_b32 s0, s3
	s_delay_alu instid0(SALU_CYCLE_1)
	s_or_b32 exec_lo, exec_lo, s0
                                        ; implicit-def: $vgpr10
                                        ; implicit-def: $vgpr7_vgpr8
.LBB0_204:
	s_and_not1_saveexec_b32 s0, s2
; %bb.205:
	v_cmp_eq_u64_e32 vcc_lo, 0, v[7:8]
	v_or_b32_e32 v9, 0x7f, v10
	s_delay_alu instid0(VALU_DEP_1)
	v_cndmask_b32_e32 v26, v9, v26, vcc_lo
; %bb.206:
	s_or_b32 exec_lo, exec_lo, s0
	v_dual_mul_f32 v7, v14, v24 :: v_dual_mov_b32 v8, 0
	s_mov_b32 s0, 0xc3e00000
	s_delay_alu instid0(VALU_DEP_1) | instid1(SALU_CYCLE_1)
	v_maxmin_f32 v9, v7, s0, 0x43e00000
	s_mov_b32 s0, exec_lo
	s_delay_alu instid0(VALU_DEP_2) | instskip(NEXT) | instid1(VALU_DEP_2)
	v_mov_b32_e32 v31, v8
	v_lshrrev_b32_e32 v10, 24, v9
	v_and_b32_e32 v30, 0x7f800000, v9
	v_and_b32_e32 v7, 0x7fffff, v9
	s_delay_alu instid0(VALU_DEP_3) | instskip(NEXT) | instid1(VALU_DEP_1)
	v_and_b32_e32 v29, 0x80, v10
	v_or_b32_e32 v24, 0x7e, v29
	s_delay_alu instid0(VALU_DEP_4)
	v_cmpx_ne_u64_e32 0x7f800000, v[30:31]
	s_xor_b32 s2, exec_lo, s0
	s_cbranch_execz .LBB0_222
; %bb.207:
	v_dual_mov_b32 v31, v8 :: v_dual_and_b32 v30, 0x7fffffff, v9
	s_mov_b32 s0, exec_lo
	s_delay_alu instid0(VALU_DEP_1)
	v_cmpx_gt_u64_e32 0x43e00001, v[30:31]
	s_xor_b32 s3, exec_lo, s0
	s_cbranch_execz .LBB0_221
; %bb.208:
	v_mov_b32_e32 v24, 0
	s_mov_b32 s4, exec_lo
	v_cmpx_ne_u32_e32 0, v9
	s_cbranch_execz .LBB0_220
; %bb.209:
	v_bfe_u32 v24, v9, 23, 8
	v_or_b32_e32 v31, 0x800000, v7
	s_delay_alu instid0(VALU_DEP_2) | instskip(SKIP_1) | instid1(VALU_DEP_2)
	v_sub_nc_u32_e32 v9, 0x79, v24
	v_cmp_gt_u32_e32 vcc_lo, 0x7a, v24
	v_cndmask_b32_e32 v9, 0, v9, vcc_lo
	v_cmp_eq_u32_e32 vcc_lo, 0, v24
	s_delay_alu instid0(VALU_DEP_2) | instskip(SKIP_1) | instid1(VALU_DEP_2)
	v_cndmask_b32_e64 v30, v9, 0x78, vcc_lo
	v_cndmask_b32_e32 v7, v31, v7, vcc_lo
	v_add_nc_u32_e32 v9, 20, v30
	v_add_nc_u32_e32 v31, 19, v30
	s_delay_alu instid0(VALU_DEP_2) | instskip(NEXT) | instid1(VALU_DEP_1)
	v_lshlrev_b64 v[9:10], v9, -1
	v_not_b32_e32 v33, v9
	s_delay_alu instid0(VALU_DEP_2) | instskip(NEXT) | instid1(VALU_DEP_4)
	v_not_b32_e32 v32, v10
	v_lshlrev_b64 v[9:10], v31, 1
	s_delay_alu instid0(VALU_DEP_3) | instskip(SKIP_1) | instid1(VALU_DEP_4)
	v_and_b32_e32 v31, v7, v33
	v_lshrrev_b64 v[7:8], v30, v[7:8]
	v_and_b32_e32 v32, 0, v32
	s_delay_alu instid0(VALU_DEP_1) | instskip(NEXT) | instid1(VALU_DEP_3)
	v_cmp_eq_u64_e64 s0, v[31:32], v[9:10]
	v_dual_mov_b32 v10, v8 :: v_dual_mov_b32 v9, v7
	s_delay_alu instid0(VALU_DEP_2)
	s_and_saveexec_b32 s5, s0
; %bb.210:
	v_bfe_u32 v9, v7, 20, 1
	s_delay_alu instid0(VALU_DEP_1) | instskip(NEXT) | instid1(VALU_DEP_1)
	v_add_co_u32 v9, s0, v7, v9
	v_add_co_u32 v9, s0, v9, -1
; %bb.211:
	s_or_b32 exec_lo, exec_lo, s5
	v_add_nc_u32_e32 v10, 0xffffff81, v24
	v_lshrrev_b32_e32 v24, 23, v7
	s_delay_alu instid0(VALU_DEP_3) | instskip(SKIP_1) | instid1(VALU_DEP_3)
	v_and_b32_e32 v9, 0xfffff, v9
	s_mov_b32 s0, exec_lo
	v_cndmask_b32_e64 v10, v10, 0xffffff82, vcc_lo
	s_delay_alu instid0(VALU_DEP_2) | instskip(SKIP_1) | instid1(VALU_DEP_3)
	v_add_co_u32 v7, vcc_lo, v9, v7
	v_add_co_ci_u32_e32 v8, vcc_lo, 0, v8, vcc_lo
	v_add3_u32 v10, v30, v10, v24
                                        ; implicit-def: $vgpr9
	s_delay_alu instid0(VALU_DEP_1) | instskip(NEXT) | instid1(VALU_DEP_1)
	v_add_nc_u32_e32 v24, 6, v10
	v_cmpx_ne_u32_e32 0, v24
	s_xor_b32 s0, exec_lo, s0
; %bb.212:
	v_cmp_lt_u64_e32 vcc_lo, 0xffffff, v[7:8]
	v_add_nc_u32_e32 v9, 7, v10
	v_cndmask_b32_e64 v10, 0, 1, vcc_lo
	s_delay_alu instid0(VALU_DEP_2) | instskip(NEXT) | instid1(VALU_DEP_2)
	v_cndmask_b32_e32 v9, v24, v9, vcc_lo
	v_lshrrev_b64 v[7:8], v10, v[7:8]
; %bb.213:
	s_and_not1_saveexec_b32 s0, s0
; %bb.214:
	s_delay_alu instid0(VALU_DEP_1)
	v_bfe_u32 v9, v7, 23, 1
; %bb.215:
	s_or_b32 exec_lo, exec_lo, s0
	s_delay_alu instid0(VALU_DEP_2) | instskip(NEXT) | instid1(VALU_DEP_2)
	v_lshrrev_b64 v[7:8], 20, v[7:8]
	v_cmp_gt_i32_e32 vcc_lo, 16, v9
	v_cmp_ne_u32_e64 s0, 0, v9
                                        ; implicit-def: $vgpr24
	s_delay_alu instid0(VALU_DEP_3) | instskip(NEXT) | instid1(VALU_DEP_1)
	v_dual_cndmask_b32 v8, 0, v8 :: v_dual_cndmask_b32 v7, 7, v7
	v_cmp_ne_u64_e32 vcc_lo, 0, v[7:8]
	s_delay_alu instid0(VALU_DEP_3) | instskip(NEXT) | instid1(SALU_CYCLE_1)
	s_or_b32 s0, s0, vcc_lo
	s_and_saveexec_b32 s5, s0
	s_delay_alu instid0(SALU_CYCLE_1)
	s_xor_b32 s0, exec_lo, s5
; %bb.216:
	v_min_i32_e32 v8, 15, v9
	s_delay_alu instid0(VALU_DEP_1) | instskip(NEXT) | instid1(VALU_DEP_1)
	v_lshl_or_b32 v8, v8, 3, v29
                                        ; implicit-def: $vgpr29
	v_and_or_b32 v24, v7, 7, v8
; %bb.217:
	s_and_not1_saveexec_b32 s0, s0
; %bb.218:
	v_mov_b32_e32 v24, v29
; %bb.219:
	s_or_b32 exec_lo, exec_lo, s0
.LBB0_220:
	s_delay_alu instid0(SALU_CYCLE_1)
	s_or_b32 exec_lo, exec_lo, s4
.LBB0_221:
	s_and_not1_saveexec_b32 s0, s3
	s_delay_alu instid0(SALU_CYCLE_1)
	s_or_b32 exec_lo, exec_lo, s0
                                        ; implicit-def: $vgpr10
                                        ; implicit-def: $vgpr7_vgpr8
.LBB0_222:
	s_and_not1_saveexec_b32 s0, s2
; %bb.223:
	v_cmp_eq_u64_e32 vcc_lo, 0, v[7:8]
	v_or_b32_e32 v9, 0x7f, v10
	s_delay_alu instid0(VALU_DEP_1)
	v_cndmask_b32_e32 v24, v9, v24, vcc_lo
; %bb.224:
	s_or_b32 exec_lo, exec_lo, s0
	v_dual_mul_f32 v7, v14, v23 :: v_dual_mov_b32 v8, 0
	s_mov_b32 s0, 0xc3e00000
	s_delay_alu instid0(VALU_DEP_1) | instid1(SALU_CYCLE_1)
	v_maxmin_f32 v9, v7, s0, 0x43e00000
	s_mov_b32 s0, exec_lo
	s_delay_alu instid0(VALU_DEP_2) | instskip(NEXT) | instid1(VALU_DEP_2)
	v_mov_b32_e32 v31, v8
	v_lshrrev_b32_e32 v10, 24, v9
	v_and_b32_e32 v30, 0x7f800000, v9
	v_and_b32_e32 v7, 0x7fffff, v9
	s_delay_alu instid0(VALU_DEP_3) | instskip(NEXT) | instid1(VALU_DEP_1)
	v_and_b32_e32 v29, 0x80, v10
	v_or_b32_e32 v23, 0x7e, v29
	s_delay_alu instid0(VALU_DEP_4)
	v_cmpx_ne_u64_e32 0x7f800000, v[30:31]
	s_xor_b32 s2, exec_lo, s0
	s_cbranch_execz .LBB0_240
; %bb.225:
	v_dual_mov_b32 v31, v8 :: v_dual_and_b32 v30, 0x7fffffff, v9
	s_mov_b32 s0, exec_lo
	s_delay_alu instid0(VALU_DEP_1)
	v_cmpx_gt_u64_e32 0x43e00001, v[30:31]
	s_xor_b32 s3, exec_lo, s0
	s_cbranch_execz .LBB0_239
; %bb.226:
	v_mov_b32_e32 v23, 0
	s_mov_b32 s4, exec_lo
	v_cmpx_ne_u32_e32 0, v9
	s_cbranch_execz .LBB0_238
; %bb.227:
	v_bfe_u32 v23, v9, 23, 8
	v_or_b32_e32 v31, 0x800000, v7
	s_delay_alu instid0(VALU_DEP_2) | instskip(SKIP_1) | instid1(VALU_DEP_2)
	v_sub_nc_u32_e32 v9, 0x79, v23
	v_cmp_gt_u32_e32 vcc_lo, 0x7a, v23
	v_cndmask_b32_e32 v9, 0, v9, vcc_lo
	v_cmp_eq_u32_e32 vcc_lo, 0, v23
	s_delay_alu instid0(VALU_DEP_2) | instskip(SKIP_1) | instid1(VALU_DEP_2)
	v_cndmask_b32_e64 v30, v9, 0x78, vcc_lo
	v_cndmask_b32_e32 v7, v31, v7, vcc_lo
	v_add_nc_u32_e32 v9, 20, v30
	v_add_nc_u32_e32 v31, 19, v30
	s_delay_alu instid0(VALU_DEP_2) | instskip(NEXT) | instid1(VALU_DEP_1)
	v_lshlrev_b64 v[9:10], v9, -1
	v_not_b32_e32 v33, v9
	s_delay_alu instid0(VALU_DEP_2) | instskip(NEXT) | instid1(VALU_DEP_4)
	v_not_b32_e32 v32, v10
	v_lshlrev_b64 v[9:10], v31, 1
	s_delay_alu instid0(VALU_DEP_3) | instskip(SKIP_1) | instid1(VALU_DEP_4)
	v_and_b32_e32 v31, v7, v33
	v_lshrrev_b64 v[7:8], v30, v[7:8]
	v_and_b32_e32 v32, 0, v32
	s_delay_alu instid0(VALU_DEP_1) | instskip(NEXT) | instid1(VALU_DEP_3)
	v_cmp_eq_u64_e64 s0, v[31:32], v[9:10]
	v_dual_mov_b32 v10, v8 :: v_dual_mov_b32 v9, v7
	s_delay_alu instid0(VALU_DEP_2)
	s_and_saveexec_b32 s5, s0
; %bb.228:
	v_bfe_u32 v9, v7, 20, 1
	s_delay_alu instid0(VALU_DEP_1) | instskip(NEXT) | instid1(VALU_DEP_1)
	v_add_co_u32 v9, s0, v7, v9
	v_add_co_u32 v9, s0, v9, -1
; %bb.229:
	s_or_b32 exec_lo, exec_lo, s5
	v_add_nc_u32_e32 v10, 0xffffff81, v23
	v_lshrrev_b32_e32 v23, 23, v7
	s_delay_alu instid0(VALU_DEP_3) | instskip(SKIP_1) | instid1(VALU_DEP_3)
	v_and_b32_e32 v9, 0xfffff, v9
	s_mov_b32 s0, exec_lo
	v_cndmask_b32_e64 v10, v10, 0xffffff82, vcc_lo
	s_delay_alu instid0(VALU_DEP_2) | instskip(SKIP_1) | instid1(VALU_DEP_3)
	v_add_co_u32 v7, vcc_lo, v9, v7
	v_add_co_ci_u32_e32 v8, vcc_lo, 0, v8, vcc_lo
	v_add3_u32 v10, v30, v10, v23
                                        ; implicit-def: $vgpr9
	s_delay_alu instid0(VALU_DEP_1) | instskip(NEXT) | instid1(VALU_DEP_1)
	v_add_nc_u32_e32 v23, 6, v10
	v_cmpx_ne_u32_e32 0, v23
	s_xor_b32 s0, exec_lo, s0
; %bb.230:
	v_cmp_lt_u64_e32 vcc_lo, 0xffffff, v[7:8]
	v_add_nc_u32_e32 v9, 7, v10
	v_cndmask_b32_e64 v10, 0, 1, vcc_lo
	s_delay_alu instid0(VALU_DEP_2) | instskip(NEXT) | instid1(VALU_DEP_2)
	v_cndmask_b32_e32 v9, v23, v9, vcc_lo
	v_lshrrev_b64 v[7:8], v10, v[7:8]
; %bb.231:
	s_and_not1_saveexec_b32 s0, s0
; %bb.232:
	s_delay_alu instid0(VALU_DEP_1)
	v_bfe_u32 v9, v7, 23, 1
; %bb.233:
	s_or_b32 exec_lo, exec_lo, s0
	s_delay_alu instid0(VALU_DEP_2) | instskip(NEXT) | instid1(VALU_DEP_2)
	v_lshrrev_b64 v[7:8], 20, v[7:8]
	v_cmp_gt_i32_e32 vcc_lo, 16, v9
	v_cmp_ne_u32_e64 s0, 0, v9
                                        ; implicit-def: $vgpr23
	s_delay_alu instid0(VALU_DEP_3) | instskip(NEXT) | instid1(VALU_DEP_1)
	v_dual_cndmask_b32 v8, 0, v8 :: v_dual_cndmask_b32 v7, 7, v7
	v_cmp_ne_u64_e32 vcc_lo, 0, v[7:8]
	s_delay_alu instid0(VALU_DEP_3) | instskip(NEXT) | instid1(SALU_CYCLE_1)
	s_or_b32 s0, s0, vcc_lo
	s_and_saveexec_b32 s5, s0
	s_delay_alu instid0(SALU_CYCLE_1)
	s_xor_b32 s0, exec_lo, s5
; %bb.234:
	v_min_i32_e32 v8, 15, v9
	s_delay_alu instid0(VALU_DEP_1) | instskip(NEXT) | instid1(VALU_DEP_1)
	v_lshl_or_b32 v8, v8, 3, v29
                                        ; implicit-def: $vgpr29
	v_and_or_b32 v23, v7, 7, v8
; %bb.235:
	s_and_not1_saveexec_b32 s0, s0
; %bb.236:
	v_mov_b32_e32 v23, v29
; %bb.237:
	s_or_b32 exec_lo, exec_lo, s0
.LBB0_238:
	s_delay_alu instid0(SALU_CYCLE_1)
	s_or_b32 exec_lo, exec_lo, s4
.LBB0_239:
	s_and_not1_saveexec_b32 s0, s3
	s_delay_alu instid0(SALU_CYCLE_1)
	s_or_b32 exec_lo, exec_lo, s0
                                        ; implicit-def: $vgpr10
                                        ; implicit-def: $vgpr7_vgpr8
.LBB0_240:
	s_and_not1_saveexec_b32 s0, s2
; %bb.241:
	v_cmp_eq_u64_e32 vcc_lo, 0, v[7:8]
	v_or_b32_e32 v9, 0x7f, v10
	s_delay_alu instid0(VALU_DEP_1)
	v_cndmask_b32_e32 v23, v9, v23, vcc_lo
; %bb.242:
	s_or_b32 exec_lo, exec_lo, s0
	v_dual_mul_f32 v7, v14, v22 :: v_dual_mov_b32 v8, 0
	s_mov_b32 s0, 0xc3e00000
	s_delay_alu instid0(VALU_DEP_1) | instid1(SALU_CYCLE_1)
	v_maxmin_f32 v9, v7, s0, 0x43e00000
	s_mov_b32 s0, exec_lo
	s_delay_alu instid0(VALU_DEP_2) | instskip(NEXT) | instid1(VALU_DEP_2)
	v_mov_b32_e32 v31, v8
	v_lshrrev_b32_e32 v10, 24, v9
	v_and_b32_e32 v30, 0x7f800000, v9
	v_and_b32_e32 v7, 0x7fffff, v9
	s_delay_alu instid0(VALU_DEP_3) | instskip(NEXT) | instid1(VALU_DEP_1)
	v_and_b32_e32 v29, 0x80, v10
	v_or_b32_e32 v22, 0x7e, v29
	s_delay_alu instid0(VALU_DEP_4)
	v_cmpx_ne_u64_e32 0x7f800000, v[30:31]
	s_xor_b32 s2, exec_lo, s0
	s_cbranch_execz .LBB0_258
; %bb.243:
	v_dual_mov_b32 v31, v8 :: v_dual_and_b32 v30, 0x7fffffff, v9
	s_mov_b32 s0, exec_lo
	s_delay_alu instid0(VALU_DEP_1)
	v_cmpx_gt_u64_e32 0x43e00001, v[30:31]
	s_xor_b32 s3, exec_lo, s0
	s_cbranch_execz .LBB0_257
; %bb.244:
	v_mov_b32_e32 v22, 0
	s_mov_b32 s4, exec_lo
	v_cmpx_ne_u32_e32 0, v9
	s_cbranch_execz .LBB0_256
; %bb.245:
	v_bfe_u32 v22, v9, 23, 8
	v_or_b32_e32 v31, 0x800000, v7
	s_delay_alu instid0(VALU_DEP_2) | instskip(SKIP_1) | instid1(VALU_DEP_2)
	v_sub_nc_u32_e32 v9, 0x79, v22
	v_cmp_gt_u32_e32 vcc_lo, 0x7a, v22
	v_cndmask_b32_e32 v9, 0, v9, vcc_lo
	v_cmp_eq_u32_e32 vcc_lo, 0, v22
	s_delay_alu instid0(VALU_DEP_2) | instskip(SKIP_1) | instid1(VALU_DEP_2)
	v_cndmask_b32_e64 v30, v9, 0x78, vcc_lo
	v_cndmask_b32_e32 v7, v31, v7, vcc_lo
	v_add_nc_u32_e32 v9, 20, v30
	v_add_nc_u32_e32 v31, 19, v30
	s_delay_alu instid0(VALU_DEP_2) | instskip(NEXT) | instid1(VALU_DEP_1)
	v_lshlrev_b64 v[9:10], v9, -1
	v_not_b32_e32 v33, v9
	s_delay_alu instid0(VALU_DEP_2) | instskip(NEXT) | instid1(VALU_DEP_4)
	v_not_b32_e32 v32, v10
	v_lshlrev_b64 v[9:10], v31, 1
	s_delay_alu instid0(VALU_DEP_3) | instskip(SKIP_1) | instid1(VALU_DEP_4)
	v_and_b32_e32 v31, v7, v33
	v_lshrrev_b64 v[7:8], v30, v[7:8]
	v_and_b32_e32 v32, 0, v32
	s_delay_alu instid0(VALU_DEP_1) | instskip(NEXT) | instid1(VALU_DEP_3)
	v_cmp_eq_u64_e64 s0, v[31:32], v[9:10]
	v_dual_mov_b32 v10, v8 :: v_dual_mov_b32 v9, v7
	s_delay_alu instid0(VALU_DEP_2)
	s_and_saveexec_b32 s5, s0
; %bb.246:
	v_bfe_u32 v9, v7, 20, 1
	s_delay_alu instid0(VALU_DEP_1) | instskip(NEXT) | instid1(VALU_DEP_1)
	v_add_co_u32 v9, s0, v7, v9
	v_add_co_u32 v9, s0, v9, -1
; %bb.247:
	s_or_b32 exec_lo, exec_lo, s5
	v_add_nc_u32_e32 v10, 0xffffff81, v22
	v_lshrrev_b32_e32 v22, 23, v7
	s_delay_alu instid0(VALU_DEP_3) | instskip(SKIP_1) | instid1(VALU_DEP_3)
	v_and_b32_e32 v9, 0xfffff, v9
	s_mov_b32 s0, exec_lo
	v_cndmask_b32_e64 v10, v10, 0xffffff82, vcc_lo
	s_delay_alu instid0(VALU_DEP_2) | instskip(SKIP_1) | instid1(VALU_DEP_3)
	v_add_co_u32 v7, vcc_lo, v9, v7
	v_add_co_ci_u32_e32 v8, vcc_lo, 0, v8, vcc_lo
	v_add3_u32 v10, v30, v10, v22
                                        ; implicit-def: $vgpr9
	s_delay_alu instid0(VALU_DEP_1) | instskip(NEXT) | instid1(VALU_DEP_1)
	v_add_nc_u32_e32 v22, 6, v10
	v_cmpx_ne_u32_e32 0, v22
	s_xor_b32 s0, exec_lo, s0
; %bb.248:
	v_cmp_lt_u64_e32 vcc_lo, 0xffffff, v[7:8]
	v_add_nc_u32_e32 v9, 7, v10
	v_cndmask_b32_e64 v10, 0, 1, vcc_lo
	s_delay_alu instid0(VALU_DEP_2) | instskip(NEXT) | instid1(VALU_DEP_2)
	v_cndmask_b32_e32 v9, v22, v9, vcc_lo
	v_lshrrev_b64 v[7:8], v10, v[7:8]
; %bb.249:
	s_and_not1_saveexec_b32 s0, s0
; %bb.250:
	s_delay_alu instid0(VALU_DEP_1)
	v_bfe_u32 v9, v7, 23, 1
; %bb.251:
	s_or_b32 exec_lo, exec_lo, s0
	s_delay_alu instid0(VALU_DEP_2) | instskip(NEXT) | instid1(VALU_DEP_2)
	v_lshrrev_b64 v[7:8], 20, v[7:8]
	v_cmp_gt_i32_e32 vcc_lo, 16, v9
	v_cmp_ne_u32_e64 s0, 0, v9
                                        ; implicit-def: $vgpr22
	s_delay_alu instid0(VALU_DEP_3) | instskip(NEXT) | instid1(VALU_DEP_1)
	v_dual_cndmask_b32 v8, 0, v8 :: v_dual_cndmask_b32 v7, 7, v7
	v_cmp_ne_u64_e32 vcc_lo, 0, v[7:8]
	s_delay_alu instid0(VALU_DEP_3) | instskip(NEXT) | instid1(SALU_CYCLE_1)
	s_or_b32 s0, s0, vcc_lo
	s_and_saveexec_b32 s5, s0
	s_delay_alu instid0(SALU_CYCLE_1)
	s_xor_b32 s0, exec_lo, s5
; %bb.252:
	v_min_i32_e32 v8, 15, v9
	s_delay_alu instid0(VALU_DEP_1) | instskip(NEXT) | instid1(VALU_DEP_1)
	v_lshl_or_b32 v8, v8, 3, v29
                                        ; implicit-def: $vgpr29
	v_and_or_b32 v22, v7, 7, v8
; %bb.253:
	s_and_not1_saveexec_b32 s0, s0
; %bb.254:
	v_mov_b32_e32 v22, v29
; %bb.255:
	s_or_b32 exec_lo, exec_lo, s0
.LBB0_256:
	s_delay_alu instid0(SALU_CYCLE_1)
	s_or_b32 exec_lo, exec_lo, s4
.LBB0_257:
	s_and_not1_saveexec_b32 s0, s3
	s_delay_alu instid0(SALU_CYCLE_1)
	s_or_b32 exec_lo, exec_lo, s0
                                        ; implicit-def: $vgpr10
                                        ; implicit-def: $vgpr7_vgpr8
.LBB0_258:
	s_and_not1_saveexec_b32 s0, s2
; %bb.259:
	v_cmp_eq_u64_e32 vcc_lo, 0, v[7:8]
	v_or_b32_e32 v9, 0x7f, v10
	s_delay_alu instid0(VALU_DEP_1)
	v_cndmask_b32_e32 v22, v9, v22, vcc_lo
; %bb.260:
	s_or_b32 exec_lo, exec_lo, s0
	v_dual_mul_f32 v7, v14, v21 :: v_dual_mov_b32 v8, 0
	s_mov_b32 s0, 0xc3e00000
	s_delay_alu instid0(VALU_DEP_1) | instid1(SALU_CYCLE_1)
	v_maxmin_f32 v9, v7, s0, 0x43e00000
	s_mov_b32 s0, exec_lo
	s_delay_alu instid0(VALU_DEP_2) | instskip(NEXT) | instid1(VALU_DEP_2)
	v_mov_b32_e32 v31, v8
	v_lshrrev_b32_e32 v10, 24, v9
	v_and_b32_e32 v30, 0x7f800000, v9
	v_and_b32_e32 v7, 0x7fffff, v9
	s_delay_alu instid0(VALU_DEP_3) | instskip(NEXT) | instid1(VALU_DEP_1)
	v_and_b32_e32 v29, 0x80, v10
	v_or_b32_e32 v21, 0x7e, v29
	s_delay_alu instid0(VALU_DEP_4)
	v_cmpx_ne_u64_e32 0x7f800000, v[30:31]
	s_xor_b32 s2, exec_lo, s0
	s_cbranch_execz .LBB0_276
; %bb.261:
	v_dual_mov_b32 v31, v8 :: v_dual_and_b32 v30, 0x7fffffff, v9
	s_mov_b32 s0, exec_lo
	s_delay_alu instid0(VALU_DEP_1)
	v_cmpx_gt_u64_e32 0x43e00001, v[30:31]
	s_xor_b32 s3, exec_lo, s0
	s_cbranch_execz .LBB0_275
; %bb.262:
	v_mov_b32_e32 v21, 0
	s_mov_b32 s4, exec_lo
	v_cmpx_ne_u32_e32 0, v9
	s_cbranch_execz .LBB0_274
; %bb.263:
	v_bfe_u32 v21, v9, 23, 8
	v_or_b32_e32 v31, 0x800000, v7
	s_delay_alu instid0(VALU_DEP_2) | instskip(SKIP_1) | instid1(VALU_DEP_2)
	v_sub_nc_u32_e32 v9, 0x79, v21
	v_cmp_gt_u32_e32 vcc_lo, 0x7a, v21
	v_cndmask_b32_e32 v9, 0, v9, vcc_lo
	v_cmp_eq_u32_e32 vcc_lo, 0, v21
	s_delay_alu instid0(VALU_DEP_2) | instskip(SKIP_1) | instid1(VALU_DEP_2)
	v_cndmask_b32_e64 v30, v9, 0x78, vcc_lo
	v_cndmask_b32_e32 v7, v31, v7, vcc_lo
	v_add_nc_u32_e32 v9, 20, v30
	v_add_nc_u32_e32 v31, 19, v30
	s_delay_alu instid0(VALU_DEP_2) | instskip(NEXT) | instid1(VALU_DEP_1)
	v_lshlrev_b64 v[9:10], v9, -1
	v_not_b32_e32 v33, v9
	s_delay_alu instid0(VALU_DEP_2) | instskip(NEXT) | instid1(VALU_DEP_4)
	v_not_b32_e32 v32, v10
	v_lshlrev_b64 v[9:10], v31, 1
	s_delay_alu instid0(VALU_DEP_3) | instskip(SKIP_1) | instid1(VALU_DEP_4)
	v_and_b32_e32 v31, v7, v33
	v_lshrrev_b64 v[7:8], v30, v[7:8]
	v_and_b32_e32 v32, 0, v32
	s_delay_alu instid0(VALU_DEP_1) | instskip(NEXT) | instid1(VALU_DEP_3)
	v_cmp_eq_u64_e64 s0, v[31:32], v[9:10]
	v_dual_mov_b32 v10, v8 :: v_dual_mov_b32 v9, v7
	s_delay_alu instid0(VALU_DEP_2)
	s_and_saveexec_b32 s5, s0
; %bb.264:
	v_bfe_u32 v9, v7, 20, 1
	s_delay_alu instid0(VALU_DEP_1) | instskip(NEXT) | instid1(VALU_DEP_1)
	v_add_co_u32 v9, s0, v7, v9
	v_add_co_u32 v9, s0, v9, -1
; %bb.265:
	s_or_b32 exec_lo, exec_lo, s5
	v_add_nc_u32_e32 v10, 0xffffff81, v21
	v_lshrrev_b32_e32 v21, 23, v7
	s_delay_alu instid0(VALU_DEP_3) | instskip(SKIP_1) | instid1(VALU_DEP_3)
	v_and_b32_e32 v9, 0xfffff, v9
	s_mov_b32 s0, exec_lo
	v_cndmask_b32_e64 v10, v10, 0xffffff82, vcc_lo
	s_delay_alu instid0(VALU_DEP_2) | instskip(SKIP_1) | instid1(VALU_DEP_3)
	v_add_co_u32 v7, vcc_lo, v9, v7
	v_add_co_ci_u32_e32 v8, vcc_lo, 0, v8, vcc_lo
	v_add3_u32 v10, v30, v10, v21
                                        ; implicit-def: $vgpr9
	s_delay_alu instid0(VALU_DEP_1) | instskip(NEXT) | instid1(VALU_DEP_1)
	v_add_nc_u32_e32 v21, 6, v10
	v_cmpx_ne_u32_e32 0, v21
	s_xor_b32 s0, exec_lo, s0
; %bb.266:
	v_cmp_lt_u64_e32 vcc_lo, 0xffffff, v[7:8]
	v_add_nc_u32_e32 v9, 7, v10
	v_cndmask_b32_e64 v10, 0, 1, vcc_lo
	s_delay_alu instid0(VALU_DEP_2) | instskip(NEXT) | instid1(VALU_DEP_2)
	v_cndmask_b32_e32 v9, v21, v9, vcc_lo
	v_lshrrev_b64 v[7:8], v10, v[7:8]
; %bb.267:
	s_and_not1_saveexec_b32 s0, s0
; %bb.268:
	s_delay_alu instid0(VALU_DEP_1)
	v_bfe_u32 v9, v7, 23, 1
; %bb.269:
	s_or_b32 exec_lo, exec_lo, s0
	s_delay_alu instid0(VALU_DEP_2) | instskip(NEXT) | instid1(VALU_DEP_2)
	v_lshrrev_b64 v[7:8], 20, v[7:8]
	v_cmp_gt_i32_e32 vcc_lo, 16, v9
	v_cmp_ne_u32_e64 s0, 0, v9
                                        ; implicit-def: $vgpr21
	s_delay_alu instid0(VALU_DEP_3) | instskip(NEXT) | instid1(VALU_DEP_1)
	v_dual_cndmask_b32 v8, 0, v8 :: v_dual_cndmask_b32 v7, 7, v7
	v_cmp_ne_u64_e32 vcc_lo, 0, v[7:8]
	s_delay_alu instid0(VALU_DEP_3) | instskip(NEXT) | instid1(SALU_CYCLE_1)
	s_or_b32 s0, s0, vcc_lo
	s_and_saveexec_b32 s5, s0
	s_delay_alu instid0(SALU_CYCLE_1)
	s_xor_b32 s0, exec_lo, s5
; %bb.270:
	v_min_i32_e32 v8, 15, v9
	s_delay_alu instid0(VALU_DEP_1) | instskip(NEXT) | instid1(VALU_DEP_1)
	v_lshl_or_b32 v8, v8, 3, v29
                                        ; implicit-def: $vgpr29
	v_and_or_b32 v21, v7, 7, v8
; %bb.271:
	s_and_not1_saveexec_b32 s0, s0
; %bb.272:
	v_mov_b32_e32 v21, v29
; %bb.273:
	s_or_b32 exec_lo, exec_lo, s0
.LBB0_274:
	s_delay_alu instid0(SALU_CYCLE_1)
	s_or_b32 exec_lo, exec_lo, s4
.LBB0_275:
	s_and_not1_saveexec_b32 s0, s3
	s_delay_alu instid0(SALU_CYCLE_1)
	s_or_b32 exec_lo, exec_lo, s0
                                        ; implicit-def: $vgpr10
                                        ; implicit-def: $vgpr7_vgpr8
.LBB0_276:
	s_and_not1_saveexec_b32 s0, s2
; %bb.277:
	v_cmp_eq_u64_e32 vcc_lo, 0, v[7:8]
	v_or_b32_e32 v9, 0x7f, v10
	s_delay_alu instid0(VALU_DEP_1)
	v_cndmask_b32_e32 v21, v9, v21, vcc_lo
; %bb.278:
	s_or_b32 exec_lo, exec_lo, s0
	v_dual_mul_f32 v7, v14, v16 :: v_dual_mov_b32 v8, 0
	s_mov_b32 s0, 0xc3e00000
	s_delay_alu instid0(VALU_DEP_1) | instid1(SALU_CYCLE_1)
	v_maxmin_f32 v9, v7, s0, 0x43e00000
	s_mov_b32 s0, exec_lo
	s_delay_alu instid0(VALU_DEP_2) | instskip(NEXT) | instid1(VALU_DEP_2)
	v_mov_b32_e32 v31, v8
	v_lshrrev_b32_e32 v10, 24, v9
	v_and_b32_e32 v30, 0x7f800000, v9
	v_and_b32_e32 v7, 0x7fffff, v9
	s_delay_alu instid0(VALU_DEP_3) | instskip(NEXT) | instid1(VALU_DEP_1)
	v_and_b32_e32 v29, 0x80, v10
	v_or_b32_e32 v16, 0x7e, v29
	s_delay_alu instid0(VALU_DEP_4)
	v_cmpx_ne_u64_e32 0x7f800000, v[30:31]
	s_xor_b32 s2, exec_lo, s0
	s_cbranch_execz .LBB0_294
; %bb.279:
	v_dual_mov_b32 v31, v8 :: v_dual_and_b32 v30, 0x7fffffff, v9
	s_mov_b32 s0, exec_lo
	s_delay_alu instid0(VALU_DEP_1)
	v_cmpx_gt_u64_e32 0x43e00001, v[30:31]
	s_xor_b32 s3, exec_lo, s0
	s_cbranch_execz .LBB0_293
; %bb.280:
	v_mov_b32_e32 v16, 0
	s_mov_b32 s4, exec_lo
	v_cmpx_ne_u32_e32 0, v9
	s_cbranch_execz .LBB0_292
; %bb.281:
	v_bfe_u32 v16, v9, 23, 8
	v_or_b32_e32 v31, 0x800000, v7
	s_delay_alu instid0(VALU_DEP_2) | instskip(SKIP_1) | instid1(VALU_DEP_2)
	v_sub_nc_u32_e32 v9, 0x79, v16
	v_cmp_gt_u32_e32 vcc_lo, 0x7a, v16
	v_cndmask_b32_e32 v9, 0, v9, vcc_lo
	v_cmp_eq_u32_e32 vcc_lo, 0, v16
	s_delay_alu instid0(VALU_DEP_2) | instskip(SKIP_1) | instid1(VALU_DEP_2)
	v_cndmask_b32_e64 v30, v9, 0x78, vcc_lo
	v_cndmask_b32_e32 v7, v31, v7, vcc_lo
	v_add_nc_u32_e32 v9, 20, v30
	v_add_nc_u32_e32 v31, 19, v30
	s_delay_alu instid0(VALU_DEP_2) | instskip(NEXT) | instid1(VALU_DEP_1)
	v_lshlrev_b64 v[9:10], v9, -1
	v_not_b32_e32 v33, v9
	s_delay_alu instid0(VALU_DEP_2) | instskip(NEXT) | instid1(VALU_DEP_4)
	v_not_b32_e32 v32, v10
	v_lshlrev_b64 v[9:10], v31, 1
	s_delay_alu instid0(VALU_DEP_3) | instskip(SKIP_1) | instid1(VALU_DEP_4)
	v_and_b32_e32 v31, v7, v33
	v_lshrrev_b64 v[7:8], v30, v[7:8]
	v_and_b32_e32 v32, 0, v32
	s_delay_alu instid0(VALU_DEP_1) | instskip(NEXT) | instid1(VALU_DEP_3)
	v_cmp_eq_u64_e64 s0, v[31:32], v[9:10]
	v_dual_mov_b32 v10, v8 :: v_dual_mov_b32 v9, v7
	s_delay_alu instid0(VALU_DEP_2)
	s_and_saveexec_b32 s5, s0
; %bb.282:
	v_bfe_u32 v9, v7, 20, 1
	s_delay_alu instid0(VALU_DEP_1) | instskip(NEXT) | instid1(VALU_DEP_1)
	v_add_co_u32 v9, s0, v7, v9
	v_add_co_u32 v9, s0, v9, -1
; %bb.283:
	s_or_b32 exec_lo, exec_lo, s5
	v_add_nc_u32_e32 v10, 0xffffff81, v16
	v_lshrrev_b32_e32 v16, 23, v7
	s_delay_alu instid0(VALU_DEP_3) | instskip(SKIP_1) | instid1(VALU_DEP_3)
	v_and_b32_e32 v9, 0xfffff, v9
	s_mov_b32 s0, exec_lo
	v_cndmask_b32_e64 v10, v10, 0xffffff82, vcc_lo
	s_delay_alu instid0(VALU_DEP_2) | instskip(SKIP_1) | instid1(VALU_DEP_3)
	v_add_co_u32 v7, vcc_lo, v9, v7
	v_add_co_ci_u32_e32 v8, vcc_lo, 0, v8, vcc_lo
	v_add3_u32 v10, v30, v10, v16
                                        ; implicit-def: $vgpr9
	s_delay_alu instid0(VALU_DEP_1) | instskip(NEXT) | instid1(VALU_DEP_1)
	v_add_nc_u32_e32 v16, 6, v10
	v_cmpx_ne_u32_e32 0, v16
	s_xor_b32 s0, exec_lo, s0
; %bb.284:
	v_cmp_lt_u64_e32 vcc_lo, 0xffffff, v[7:8]
	v_add_nc_u32_e32 v9, 7, v10
	v_cndmask_b32_e64 v10, 0, 1, vcc_lo
	s_delay_alu instid0(VALU_DEP_2) | instskip(NEXT) | instid1(VALU_DEP_2)
	v_cndmask_b32_e32 v9, v16, v9, vcc_lo
	v_lshrrev_b64 v[7:8], v10, v[7:8]
; %bb.285:
	s_and_not1_saveexec_b32 s0, s0
; %bb.286:
	s_delay_alu instid0(VALU_DEP_1)
	v_bfe_u32 v9, v7, 23, 1
; %bb.287:
	s_or_b32 exec_lo, exec_lo, s0
	s_delay_alu instid0(VALU_DEP_2) | instskip(NEXT) | instid1(VALU_DEP_2)
	v_lshrrev_b64 v[7:8], 20, v[7:8]
	v_cmp_gt_i32_e32 vcc_lo, 16, v9
	v_cmp_ne_u32_e64 s0, 0, v9
                                        ; implicit-def: $vgpr16
	s_delay_alu instid0(VALU_DEP_3) | instskip(NEXT) | instid1(VALU_DEP_1)
	v_dual_cndmask_b32 v8, 0, v8 :: v_dual_cndmask_b32 v7, 7, v7
	v_cmp_ne_u64_e32 vcc_lo, 0, v[7:8]
	s_delay_alu instid0(VALU_DEP_3) | instskip(NEXT) | instid1(SALU_CYCLE_1)
	s_or_b32 s0, s0, vcc_lo
	s_and_saveexec_b32 s5, s0
	s_delay_alu instid0(SALU_CYCLE_1)
	s_xor_b32 s0, exec_lo, s5
; %bb.288:
	v_min_i32_e32 v8, 15, v9
	s_delay_alu instid0(VALU_DEP_1) | instskip(NEXT) | instid1(VALU_DEP_1)
	v_lshl_or_b32 v8, v8, 3, v29
                                        ; implicit-def: $vgpr29
	v_and_or_b32 v16, v7, 7, v8
; %bb.289:
	s_and_not1_saveexec_b32 s0, s0
; %bb.290:
	v_mov_b32_e32 v16, v29
; %bb.291:
	s_or_b32 exec_lo, exec_lo, s0
.LBB0_292:
	s_delay_alu instid0(SALU_CYCLE_1)
	s_or_b32 exec_lo, exec_lo, s4
.LBB0_293:
	s_and_not1_saveexec_b32 s0, s3
	s_delay_alu instid0(SALU_CYCLE_1)
	s_or_b32 exec_lo, exec_lo, s0
                                        ; implicit-def: $vgpr10
                                        ; implicit-def: $vgpr7_vgpr8
.LBB0_294:
	s_and_not1_saveexec_b32 s0, s2
; %bb.295:
	v_cmp_eq_u64_e32 vcc_lo, 0, v[7:8]
	v_or_b32_e32 v9, 0x7f, v10
	s_delay_alu instid0(VALU_DEP_1)
	v_cndmask_b32_e32 v16, v9, v16, vcc_lo
; %bb.296:
	s_or_b32 exec_lo, exec_lo, s0
	v_dual_mul_f32 v7, v14, v13 :: v_dual_mov_b32 v8, 0
	s_mov_b32 s0, 0xc3e00000
	s_delay_alu instid0(VALU_DEP_1) | instid1(SALU_CYCLE_1)
	v_maxmin_f32 v10, v7, s0, 0x43e00000
	s_mov_b32 s0, exec_lo
	s_delay_alu instid0(VALU_DEP_2) | instskip(NEXT) | instid1(VALU_DEP_2)
	v_mov_b32_e32 v30, v8
	v_lshrrev_b32_e32 v14, 24, v10
	v_and_b32_e32 v29, 0x7f800000, v10
	v_and_b32_e32 v7, 0x7fffff, v10
	s_delay_alu instid0(VALU_DEP_3) | instskip(NEXT) | instid1(VALU_DEP_1)
	v_and_b32_e32 v13, 0x80, v14
	v_or_b32_e32 v9, 0x7e, v13
	s_delay_alu instid0(VALU_DEP_4)
	v_cmpx_ne_u64_e32 0x7f800000, v[29:30]
	s_xor_b32 s2, exec_lo, s0
	s_cbranch_execz .LBB0_312
; %bb.297:
	v_dual_mov_b32 v30, v8 :: v_dual_and_b32 v29, 0x7fffffff, v10
	s_mov_b32 s0, exec_lo
	s_delay_alu instid0(VALU_DEP_1)
	v_cmpx_gt_u64_e32 0x43e00001, v[29:30]
	s_xor_b32 s3, exec_lo, s0
	s_cbranch_execz .LBB0_311
; %bb.298:
	v_mov_b32_e32 v9, 0
	s_mov_b32 s4, exec_lo
	v_cmpx_ne_u32_e32 0, v10
	s_cbranch_execz .LBB0_310
; %bb.299:
	v_bfe_u32 v14, v10, 23, 8
	v_or_b32_e32 v30, 0x800000, v7
	s_delay_alu instid0(VALU_DEP_2) | instskip(SKIP_1) | instid1(VALU_DEP_2)
	v_sub_nc_u32_e32 v9, 0x79, v14
	v_cmp_gt_u32_e32 vcc_lo, 0x7a, v14
	v_cndmask_b32_e32 v9, 0, v9, vcc_lo
	v_cmp_eq_u32_e32 vcc_lo, 0, v14
	s_delay_alu instid0(VALU_DEP_2) | instskip(NEXT) | instid1(VALU_DEP_1)
	v_cndmask_b32_e64 v29, v9, 0x78, vcc_lo
	v_dual_cndmask_b32 v7, v30, v7 :: v_dual_add_nc_u32 v30, 19, v29
	v_add_nc_u32_e32 v9, 20, v29
	s_delay_alu instid0(VALU_DEP_1) | instskip(NEXT) | instid1(VALU_DEP_1)
	v_lshlrev_b64 v[9:10], v9, -1
	v_not_b32_e32 v32, v9
	s_delay_alu instid0(VALU_DEP_2) | instskip(SKIP_1) | instid1(VALU_DEP_3)
	v_not_b32_e32 v31, v10
	v_lshlrev_b64 v[9:10], v30, 1
	v_and_b32_e32 v30, v7, v32
	v_lshrrev_b64 v[7:8], v29, v[7:8]
	s_delay_alu instid0(VALU_DEP_4) | instskip(NEXT) | instid1(VALU_DEP_1)
	v_and_b32_e32 v31, 0, v31
	v_cmp_eq_u64_e64 s0, v[30:31], v[9:10]
	s_delay_alu instid0(VALU_DEP_3) | instskip(NEXT) | instid1(VALU_DEP_2)
	v_dual_mov_b32 v10, v8 :: v_dual_mov_b32 v9, v7
	s_and_saveexec_b32 s5, s0
; %bb.300:
	v_bfe_u32 v9, v7, 20, 1
	s_delay_alu instid0(VALU_DEP_1) | instskip(NEXT) | instid1(VALU_DEP_1)
	v_add_co_u32 v9, s0, v7, v9
	v_add_co_u32 v9, s0, v9, -1
; %bb.301:
	s_or_b32 exec_lo, exec_lo, s5
	v_add_nc_u32_e32 v10, 0xffffff81, v14
	v_lshrrev_b32_e32 v14, 23, v7
	s_mov_b32 s0, exec_lo
	s_delay_alu instid0(VALU_DEP_2) | instskip(NEXT) | instid1(VALU_DEP_1)
	v_cndmask_b32_e64 v10, v10, 0xffffff82, vcc_lo
	v_add3_u32 v14, v29, v10, v14
	v_and_b32_e32 v10, 0xfffff, v9
	s_delay_alu instid0(VALU_DEP_2) | instskip(NEXT) | instid1(VALU_DEP_2)
	v_add_nc_u32_e32 v9, 6, v14
	v_add_co_u32 v7, vcc_lo, v10, v7
	v_add_co_ci_u32_e32 v8, vcc_lo, 0, v8, vcc_lo
                                        ; implicit-def: $vgpr10
	s_delay_alu instid0(VALU_DEP_3)
	v_cmpx_ne_u32_e32 0, v9
	s_xor_b32 s0, exec_lo, s0
; %bb.302:
	s_delay_alu instid0(VALU_DEP_2) | instskip(SKIP_1) | instid1(VALU_DEP_1)
	v_cmp_lt_u64_e32 vcc_lo, 0xffffff, v[7:8]
	v_add_nc_u32_e32 v10, 7, v14
	v_cndmask_b32_e32 v10, v9, v10, vcc_lo
	v_cndmask_b32_e64 v9, 0, 1, vcc_lo
	s_delay_alu instid0(VALU_DEP_1)
	v_lshrrev_b64 v[7:8], v9, v[7:8]
; %bb.303:
	s_and_not1_saveexec_b32 s0, s0
; %bb.304:
	s_delay_alu instid0(VALU_DEP_1)
	v_bfe_u32 v10, v7, 23, 1
; %bb.305:
	s_or_b32 exec_lo, exec_lo, s0
	s_delay_alu instid0(VALU_DEP_2) | instskip(NEXT) | instid1(VALU_DEP_2)
	v_lshrrev_b64 v[7:8], 20, v[7:8]
	v_cmp_gt_i32_e32 vcc_lo, 16, v10
	v_cmp_ne_u32_e64 s0, 0, v10
                                        ; implicit-def: $vgpr9
	s_delay_alu instid0(VALU_DEP_3) | instskip(NEXT) | instid1(VALU_DEP_1)
	v_dual_cndmask_b32 v8, 0, v8 :: v_dual_cndmask_b32 v7, 7, v7
	v_cmp_ne_u64_e32 vcc_lo, 0, v[7:8]
	s_delay_alu instid0(VALU_DEP_3) | instskip(NEXT) | instid1(SALU_CYCLE_1)
	s_or_b32 s0, s0, vcc_lo
	s_and_saveexec_b32 s5, s0
	s_delay_alu instid0(SALU_CYCLE_1)
	s_xor_b32 s0, exec_lo, s5
; %bb.306:
	v_min_i32_e32 v8, 15, v10
	s_delay_alu instid0(VALU_DEP_1) | instskip(NEXT) | instid1(VALU_DEP_1)
	v_lshl_or_b32 v8, v8, 3, v13
                                        ; implicit-def: $vgpr13
	v_and_or_b32 v9, v7, 7, v8
; %bb.307:
	s_and_not1_saveexec_b32 s0, s0
; %bb.308:
	v_mov_b32_e32 v9, v13
; %bb.309:
	s_or_b32 exec_lo, exec_lo, s0
.LBB0_310:
	s_delay_alu instid0(SALU_CYCLE_1)
	s_or_b32 exec_lo, exec_lo, s4
.LBB0_311:
	s_and_not1_saveexec_b32 s0, s3
	s_delay_alu instid0(SALU_CYCLE_1)
	s_or_b32 exec_lo, exec_lo, s0
                                        ; implicit-def: $vgpr14
                                        ; implicit-def: $vgpr7_vgpr8
.LBB0_312:
	s_and_not1_saveexec_b32 s0, s2
; %bb.313:
	v_cmp_eq_u64_e32 vcc_lo, 0, v[7:8]
	v_or_b32_e32 v10, 0x7f, v14
	s_delay_alu instid0(VALU_DEP_1)
	v_cndmask_b32_e32 v9, v10, v9, vcc_lo
; %bb.314:
	s_or_b32 exec_lo, exec_lo, s0
	v_mad_i64_i32 v[7:8], null, 0x240, s8, v[3:4]
	v_lshlrev_b64 v[5:6], 3, v[5:6]
	v_lshlrev_b16 v10, 8, v21
	v_and_b32_e32 v13, 0xff, v22
	v_lshlrev_b16 v9, 8, v9
	v_and_b32_e32 v14, 0xff, v16
	;; [unrolled: 2-line block ×3, first 2 shown]
	v_add_co_u32 v3, vcc_lo, v7, v5
	v_add_co_ci_u32_e32 v4, vcc_lo, v8, v6, vcc_lo
	v_or_b32_e32 v5, v13, v10
	v_or_b32_e32 v6, v14, v9
	;; [unrolled: 1-line block ×3, first 2 shown]
	v_lshlrev_b16 v8, 8, v23
	v_and_b32_e32 v9, 0xff, v24
	v_lshlrev_b16 v10, 8, v20
	v_and_b32_e32 v13, 0xff, v19
	;; [unrolled: 2-line block ×5, first 2 shown]
	v_or_b32_e32 v8, v9, v8
	v_or_b32_e32 v9, v13, v10
	;; [unrolled: 1-line block ×5, first 2 shown]
	v_and_b32_e32 v5, 0xffff, v5
	v_lshlrev_b32_e32 v6, 16, v6
	v_and_b32_e32 v7, 0xffff, v7
	v_lshlrev_b32_e32 v14, 16, v8
	;; [unrolled: 2-line block ×4, first 2 shown]
	v_add_co_u32 v1, vcc_lo, v1, v37
	v_add_co_ci_u32_e32 v2, vcc_lo, 0, v2, vcc_lo
	v_and_b32_e32 v0, 3, v0
	v_or_b32_e32 v8, v5, v6
	v_or_b32_e32 v7, v7, v14
	;; [unrolled: 1-line block ×4, first 2 shown]
	s_mov_b32 s0, exec_lo
	global_store_b128 v[1:2], v[5:8], off
	v_cmpx_eq_u32_e32 0, v0
	s_cbranch_execz .LBB0_316
; %bb.315:
	v_add_f32_e32 v0, 0x42fe0000, v11
	v_lshrrev_b32_e32 v1, 2, v38
	s_delay_alu instid0(VALU_DEP_2) | instskip(NEXT) | instid1(VALU_DEP_1)
	v_minmax_f32 v0, v0, 0x437f0000, 0
	v_cvt_i32_f32_e32 v2, v0
	s_delay_alu instid0(VALU_DEP_3)
	v_add_co_u32 v0, vcc_lo, v3, v1
	v_add_co_ci_u32_e32 v1, vcc_lo, 0, v4, vcc_lo
	global_store_b8 v[0:1], v2, off
.LBB0_316:
	s_or_b32 exec_lo, exec_lo, s0
	s_delay_alu instid0(SALU_CYCLE_1)
	s_mov_b32 s0, exec_lo
	v_cmpx_eq_u32_e32 0, v38
	s_cbranch_execz .LBB0_318
; %bb.317:
	v_mov_b32_e32 v0, 0
	global_store_b8 v[3:4], v0, off offset:7
.LBB0_318:
	s_or_b32 exec_lo, exec_lo, s0
                                        ; implicit-def: $vgpr37
                                        ; implicit-def: $vgpr34
                                        ; implicit-def: $vgpr35
                                        ; implicit-def: $vgpr36
                                        ; implicit-def: $vgpr39
                                        ; implicit-def: $vgpr40
                                        ; implicit-def: $vgpr41
                                        ; implicit-def: $vgpr7
                                        ; implicit-def: $vgpr43
                                        ; implicit-def: $vgpr8
                                        ; implicit-def: $vgpr9
                                        ; implicit-def: $vgpr10
                                        ; implicit-def: $vgpr11
                                        ; implicit-def: $vgpr12
                                        ; implicit-def: $vgpr14
                                        ; implicit-def: $vgpr15
                                        ; implicit-def: $vgpr44
                                        ; implicit-def: $vgpr1_vgpr2
.LBB0_319:
	s_and_not1_saveexec_b32 s0, s1
	s_cbranch_execz .LBB0_321
; %bb.320:
	v_lshlrev_b32_e32 v0, 1, v37
	v_perm_b32 v3, v43, v7, 0x5040100
	v_perm_b32 v7, v44, v15, 0x5040100
	;; [unrolled: 1-line block ×4, first 2 shown]
	v_add_co_u32 v16, vcc_lo, v1, v0
	v_add_co_ci_u32_e32 v17, vcc_lo, 0, v2, vcc_lo
	v_perm_b32 v2, v41, v40, 0x5040100
	v_perm_b32 v1, v39, v36, 0x5040100
	v_perm_b32 v0, v35, v34, 0x5040100
	v_perm_b32 v4, v9, v8, 0x5040100
	s_clause 0x1
	global_store_b128 v[16:17], v[0:3], off offset:-448
	global_store_b128 v[16:17], v[4:7], off offset:-432
.LBB0_321:
	s_or_b32 exec_lo, exec_lo, s7
                                        ; implicit-def: $vgpr1_vgpr2_vgpr3_vgpr4_vgpr5_vgpr6_vgpr7_vgpr8_vgpr9_vgpr10_vgpr11_vgpr12_vgpr13_vgpr14_vgpr15_vgpr16
                                        ; implicit-def: $vgpr33
                                        ; implicit-def: $vgpr35
                                        ; implicit-def: $vgpr37
	s_and_not1_saveexec_b32 s0, s6
	s_cbranch_execnz .LBB0_14
	s_branch .LBB0_15
	.section	.rodata,"a",@progbits
	.p2align	6, 0x0
	.amdhsa_kernel _ZN4vllm21deepseek_v4_fused_ops47fusedDeepseekV4QNormRopeKVRopeQuantInsertKernelIN3c104HalfELi8EEEvPKT_PS4_S6_PhPKlSA_PKffiiiii
		.amdhsa_group_segment_fixed_size 0
		.amdhsa_private_segment_fixed_size 0
		.amdhsa_kernarg_size 336
		.amdhsa_user_sgpr_count 15
		.amdhsa_user_sgpr_dispatch_ptr 0
		.amdhsa_user_sgpr_queue_ptr 0
		.amdhsa_user_sgpr_kernarg_segment_ptr 1
		.amdhsa_user_sgpr_dispatch_id 0
		.amdhsa_user_sgpr_private_segment_size 0
		.amdhsa_wavefront_size32 1
		.amdhsa_uses_dynamic_stack 0
		.amdhsa_enable_private_segment 0
		.amdhsa_system_sgpr_workgroup_id_x 1
		.amdhsa_system_sgpr_workgroup_id_y 0
		.amdhsa_system_sgpr_workgroup_id_z 0
		.amdhsa_system_sgpr_workgroup_info 0
		.amdhsa_system_vgpr_workitem_id 0
		.amdhsa_next_free_vgpr 49
		.amdhsa_next_free_sgpr 22
		.amdhsa_reserve_vcc 1
		.amdhsa_float_round_mode_32 0
		.amdhsa_float_round_mode_16_64 0
		.amdhsa_float_denorm_mode_32 3
		.amdhsa_float_denorm_mode_16_64 3
		.amdhsa_dx10_clamp 1
		.amdhsa_ieee_mode 1
		.amdhsa_fp16_overflow 0
		.amdhsa_workgroup_processor_mode 1
		.amdhsa_memory_ordered 1
		.amdhsa_forward_progress 0
		.amdhsa_shared_vgpr_count 0
		.amdhsa_exception_fp_ieee_invalid_op 0
		.amdhsa_exception_fp_denorm_src 0
		.amdhsa_exception_fp_ieee_div_zero 0
		.amdhsa_exception_fp_ieee_overflow 0
		.amdhsa_exception_fp_ieee_underflow 0
		.amdhsa_exception_fp_ieee_inexact 0
		.amdhsa_exception_int_div_zero 0
	.end_amdhsa_kernel
	.section	.text._ZN4vllm21deepseek_v4_fused_ops47fusedDeepseekV4QNormRopeKVRopeQuantInsertKernelIN3c104HalfELi8EEEvPKT_PS4_S6_PhPKlSA_PKffiiiii,"axG",@progbits,_ZN4vllm21deepseek_v4_fused_ops47fusedDeepseekV4QNormRopeKVRopeQuantInsertKernelIN3c104HalfELi8EEEvPKT_PS4_S6_PhPKlSA_PKffiiiii,comdat
.Lfunc_end0:
	.size	_ZN4vllm21deepseek_v4_fused_ops47fusedDeepseekV4QNormRopeKVRopeQuantInsertKernelIN3c104HalfELi8EEEvPKT_PS4_S6_PhPKlSA_PKffiiiii, .Lfunc_end0-_ZN4vllm21deepseek_v4_fused_ops47fusedDeepseekV4QNormRopeKVRopeQuantInsertKernelIN3c104HalfELi8EEEvPKT_PS4_S6_PhPKlSA_PKffiiiii
                                        ; -- End function
	.section	.AMDGPU.csdata,"",@progbits
; Kernel info:
; codeLenInByte = 13992
; NumSgprs: 24
; NumVgprs: 49
; ScratchSize: 0
; MemoryBound: 1
; FloatMode: 240
; IeeeMode: 1
; LDSByteSize: 0 bytes/workgroup (compile time only)
; SGPRBlocks: 2
; VGPRBlocks: 6
; NumSGPRsForWavesPerEU: 24
; NumVGPRsForWavesPerEU: 49
; Occupancy: 16
; WaveLimiterHint : 1
; COMPUTE_PGM_RSRC2:SCRATCH_EN: 0
; COMPUTE_PGM_RSRC2:USER_SGPR: 15
; COMPUTE_PGM_RSRC2:TRAP_HANDLER: 0
; COMPUTE_PGM_RSRC2:TGID_X_EN: 1
; COMPUTE_PGM_RSRC2:TGID_Y_EN: 0
; COMPUTE_PGM_RSRC2:TGID_Z_EN: 0
; COMPUTE_PGM_RSRC2:TIDIG_COMP_CNT: 0
	.section	.text._ZN4vllm21deepseek_v4_fused_ops47fusedDeepseekV4QNormRopeKVRopeQuantInsertKernelIN3c104HalfELi16EEEvPKT_PS4_S6_PhPKlSA_PKffiiiii,"axG",@progbits,_ZN4vllm21deepseek_v4_fused_ops47fusedDeepseekV4QNormRopeKVRopeQuantInsertKernelIN3c104HalfELi16EEEvPKT_PS4_S6_PhPKlSA_PKffiiiii,comdat
	.protected	_ZN4vllm21deepseek_v4_fused_ops47fusedDeepseekV4QNormRopeKVRopeQuantInsertKernelIN3c104HalfELi16EEEvPKT_PS4_S6_PhPKlSA_PKffiiiii ; -- Begin function _ZN4vllm21deepseek_v4_fused_ops47fusedDeepseekV4QNormRopeKVRopeQuantInsertKernelIN3c104HalfELi16EEEvPKT_PS4_S6_PhPKlSA_PKffiiiii
	.globl	_ZN4vllm21deepseek_v4_fused_ops47fusedDeepseekV4QNormRopeKVRopeQuantInsertKernelIN3c104HalfELi16EEEvPKT_PS4_S6_PhPKlSA_PKffiiiii
	.p2align	8
	.type	_ZN4vllm21deepseek_v4_fused_ops47fusedDeepseekV4QNormRopeKVRopeQuantInsertKernelIN3c104HalfELi16EEEvPKT_PS4_S6_PhPKlSA_PKffiiiii,@function
_ZN4vllm21deepseek_v4_fused_ops47fusedDeepseekV4QNormRopeKVRopeQuantInsertKernelIN3c104HalfELi16EEEvPKT_PS4_S6_PhPKlSA_PKffiiiii: ; @_ZN4vllm21deepseek_v4_fused_ops47fusedDeepseekV4QNormRopeKVRopeQuantInsertKernelIN3c104HalfELi16EEEvPKT_PS4_S6_PhPKlSA_PKffiiiii
; %bb.0:
	s_clause 0x1
	s_load_b32 s2, s[0:1], 0x5c
	s_load_b128 s[8:11], s[0:1], 0x38
	v_lshrrev_b32_e32 v3, 5, v0
	s_waitcnt lgkmcnt(0)
	s_bfe_u32 s2, s2, 0xb0005
	s_delay_alu instid0(VALU_DEP_1) | instid1(SALU_CYCLE_1)
	v_mad_u64_u32 v[1:2], null, s15, s2, v[3:4]
	s_mov_b32 s2, exec_lo
	s_delay_alu instid0(VALU_DEP_1) | instskip(NEXT) | instid1(VALU_DEP_1)
	v_mul_hi_i32 v2, 0x78787879, v1
	v_lshrrev_b32_e32 v3, 31, v2
	v_ashrrev_i32_e32 v2, 3, v2
	s_delay_alu instid0(VALU_DEP_1) | instskip(NEXT) | instid1(VALU_DEP_1)
	v_add_nc_u32_e32 v33, v2, v3
	v_cmpx_gt_i32_e64 s9, v33
	s_cbranch_execz .LBB1_18
; %bb.1:
	s_load_b64 s[14:15], s[0:1], 0x48
	v_lshl_add_u32 v2, v33, 4, v33
	v_cmp_gt_i32_e64 s3, s10, v33
	s_delay_alu instid0(VALU_DEP_2) | instskip(NEXT) | instid1(VALU_DEP_1)
	v_sub_nc_u32_e32 v35, v1, v2
	v_cmp_ne_u32_e64 s2, 16, v35
	v_cmp_eq_u32_e32 vcc_lo, 16, v35
	s_delay_alu instid0(VALU_DEP_2) | instskip(NEXT) | instid1(SALU_CYCLE_1)
	s_or_b32 s3, s2, s3
	s_and_b32 exec_lo, exec_lo, s3
	s_cbranch_execz .LBB1_18
; %bb.2:
	s_clause 0x2
	s_load_b64 s[12:13], s[0:1], 0x8
	s_load_b128 s[4:7], s[0:1], 0x20
	s_load_b64 s[16:17], s[0:1], 0x30
	v_and_b32_e32 v38, 31, v0
	v_cmp_gt_i32_e64 s3, s11, v35
	v_ashrrev_i32_e32 v34, 31, v33
	s_xor_b32 s9, s2, -1
                                        ; implicit-def: $vgpr7
                                        ; implicit-def: $vgpr15
	s_delay_alu instid0(VALU_DEP_3) | instskip(NEXT) | instid1(VALU_DEP_3)
	v_lshlrev_b32_e32 v37, 4, v38
	s_or_b32 s9, s9, s3
	s_delay_alu instid0(SALU_CYCLE_1)
	s_and_saveexec_b32 s10, s9
	s_cbranch_execz .LBB1_8
; %bb.3:
                                        ; implicit-def: $vgpr1_vgpr2
	s_and_saveexec_b32 s3, vcc_lo
	s_delay_alu instid0(SALU_CYCLE_1)
	s_xor_b32 s18, exec_lo, s3
	s_cbranch_execz .LBB1_5
; %bb.4:
	s_load_b64 s[20:21], s[0:1], 0x10
	v_lshlrev_b64 v[1:2], 10, v[33:34]
	v_lshlrev_b32_e32 v3, 1, v37
	s_waitcnt lgkmcnt(0)
	s_delay_alu instid0(VALU_DEP_2) | instskip(NEXT) | instid1(VALU_DEP_1)
	v_add_co_u32 v1, s3, s20, v1
	v_add_co_ci_u32_e64 v2, s3, s21, v2, s3
	s_delay_alu instid0(VALU_DEP_2) | instskip(NEXT) | instid1(VALU_DEP_1)
	v_add_co_u32 v1, s3, v1, v3
	v_add_co_ci_u32_e64 v2, s3, 0, v2, s3
.LBB1_5:
	s_and_not1_saveexec_b32 s18, s18
	s_cbranch_execz .LBB1_7
; %bb.6:
	v_ashrrev_i32_e32 v36, 31, v35
	s_load_b64 s[20:21], s[0:1], 0x0
	s_delay_alu instid0(VALU_DEP_1) | instskip(NEXT) | instid1(VALU_DEP_1)
	v_mad_i64_i32 v[1:2], null, v33, s11, v[35:36]
	v_lshlrev_b64 v[1:2], 10, v[1:2]
	s_delay_alu instid0(VALU_DEP_1) | instskip(SKIP_1) | instid1(VALU_DEP_1)
	v_lshl_or_b32 v1, v37, 1, v1
	s_waitcnt lgkmcnt(0)
	v_add_co_u32 v1, s3, s20, v1
	s_delay_alu instid0(VALU_DEP_1)
	v_add_co_ci_u32_e64 v2, s3, s21, v2, s3
.LBB1_7:
	s_or_b32 exec_lo, exec_lo, s18
	s_clause 0x1
	global_load_b128 v[12:15], v[1:2], off offset:16
	global_load_b128 v[4:7], v[1:2], off
.LBB1_8:
	s_or_b32 exec_lo, exec_lo, s10
	s_load_b64 s[10:11], s[0:1], 0x18
	s_and_saveexec_b32 s0, s9
	s_delay_alu instid0(SALU_CYCLE_1)
	s_xor_b32 s9, exec_lo, s0
	s_cbranch_execz .LBB1_16
; %bb.9:
	s_waitcnt vmcnt(0)
	v_lshrrev_b32_e32 v8, 16, v5
	v_lshrrev_b32_e32 v9, 16, v6
	;; [unrolled: 1-line block ×3, first 2 shown]
	v_cvt_f32_f16_e32 v1, v4
	v_cvt_f32_f16_e32 v3, v5
	;; [unrolled: 1-line block ×3, first 2 shown]
	v_lshrrev_b32_e32 v8, 16, v7
	v_cvt_f32_f16_e32 v5, v6
	v_cvt_f32_f16_e32 v6, v9
	v_lshrrev_b32_e32 v10, 16, v12
	v_cvt_f32_f16_e32 v9, v12
	v_lshrrev_b32_e32 v12, 16, v13
	v_lshrrev_b32_e32 v16, 16, v14
	v_lshrrev_b32_e32 v17, 16, v15
	v_cvt_f32_f16_e32 v2, v2
	v_cvt_f32_f16_e32 v7, v7
	;; [unrolled: 1-line block ×10, first 2 shown]
	s_and_saveexec_b32 s1, s2
	s_cbranch_execz .LBB1_11
; %bb.10:
	v_mbcnt_lo_u32_b32 v18, -1, 0
	s_delay_alu instid0(VALU_DEP_1) | instskip(SKIP_1) | instid1(VALU_DEP_2)
	v_xor_b32_e32 v19, 16, v18
	v_xor_b32_e32 v20, 8, v18
	v_cmp_gt_i32_e64 s0, 32, v19
	s_delay_alu instid0(VALU_DEP_1) | instskip(NEXT) | instid1(VALU_DEP_3)
	v_cndmask_b32_e64 v19, v18, v19, s0
	v_cmp_gt_i32_e64 s0, 32, v20
	s_delay_alu instid0(VALU_DEP_2) | instskip(NEXT) | instid1(VALU_DEP_2)
	v_lshlrev_b32_e32 v19, 2, v19
	v_cndmask_b32_e64 v20, v18, v20, s0
	s_delay_alu instid0(VALU_DEP_1) | instskip(NEXT) | instid1(VALU_DEP_1)
	v_dual_mul_f32 v17, v2, v2 :: v_dual_lshlrev_b32 v20, 2, v20
	v_fmac_f32_e32 v17, v1, v1
	s_delay_alu instid0(VALU_DEP_1) | instskip(NEXT) | instid1(VALU_DEP_1)
	v_fmac_f32_e32 v17, v3, v3
	v_fmac_f32_e32 v17, v4, v4
	s_delay_alu instid0(VALU_DEP_1) | instskip(NEXT) | instid1(VALU_DEP_1)
	v_fmac_f32_e32 v17, v5, v5
	;; [unrolled: 3-line block ×7, first 2 shown]
	v_fmac_f32_e32 v17, v16, v16
	ds_bpermute_b32 v19, v19, v17
	s_waitcnt lgkmcnt(0)
	v_add_f32_e32 v17, v17, v19
	ds_bpermute_b32 v19, v20, v17
	v_xor_b32_e32 v20, 4, v18
	s_delay_alu instid0(VALU_DEP_1) | instskip(NEXT) | instid1(VALU_DEP_1)
	v_cmp_gt_i32_e64 s0, 32, v20
	v_cndmask_b32_e64 v20, v18, v20, s0
	s_waitcnt lgkmcnt(0)
	s_delay_alu instid0(VALU_DEP_1) | instskip(SKIP_2) | instid1(VALU_DEP_1)
	v_dual_add_f32 v17, v17, v19 :: v_dual_lshlrev_b32 v20, 2, v20
	ds_bpermute_b32 v19, v20, v17
	v_xor_b32_e32 v20, 2, v18
	v_cmp_gt_i32_e64 s0, 32, v20
	s_delay_alu instid0(VALU_DEP_1) | instskip(SKIP_1) | instid1(VALU_DEP_1)
	v_cndmask_b32_e64 v20, v18, v20, s0
	s_waitcnt lgkmcnt(0)
	v_dual_add_f32 v17, v17, v19 :: v_dual_lshlrev_b32 v20, 2, v20
	ds_bpermute_b32 v19, v20, v17
	v_xor_b32_e32 v20, 1, v18
	s_delay_alu instid0(VALU_DEP_1) | instskip(NEXT) | instid1(VALU_DEP_1)
	v_cmp_gt_i32_e64 s0, 32, v20
	v_cndmask_b32_e64 v18, v18, v20, s0
	s_waitcnt lgkmcnt(0)
	s_delay_alu instid0(VALU_DEP_1) | instskip(SKIP_4) | instid1(VALU_DEP_1)
	v_dual_add_f32 v17, v17, v19 :: v_dual_lshlrev_b32 v18, 2, v18
	v_mov_b32_e32 v19, s8
	ds_bpermute_b32 v18, v18, v17
	s_waitcnt lgkmcnt(0)
	v_add_f32_e32 v17, v17, v18
	v_fmamk_f32 v17, v17, 0x3b000000, v19
	s_delay_alu instid0(VALU_DEP_1) | instskip(SKIP_1) | instid1(VALU_DEP_1)
	v_mul_f32_e32 v18, 0x4b800000, v17
	v_cmp_gt_f32_e64 s0, 0x800000, v17
	v_cndmask_b32_e64 v17, v17, v18, s0
	s_delay_alu instid0(VALU_DEP_1) | instskip(SKIP_2) | instid1(VALU_DEP_1)
	v_rsq_f32_e32 v17, v17
	s_waitcnt_depctr 0xfff
	v_mul_f32_e32 v18, 0x45800000, v17
	v_cndmask_b32_e64 v17, v17, v18, s0
	s_delay_alu instid0(VALU_DEP_1)
	v_mul_f32_e32 v1, v17, v1
	v_mul_f32_e32 v2, v17, v2
	;; [unrolled: 1-line block ×16, first 2 shown]
.LBB1_11:
	s_or_b32 exec_lo, exec_lo, s1
	v_cmp_gt_u32_e64 s0, 28, v38
	s_mov_b32 s2, exec_lo
	v_cmpx_lt_u32_e32 27, v38
	s_cbranch_execz .LBB1_19
; %bb.12:
	v_lshlrev_b64 v[17:18], 3, v[33:34]
	v_dual_mov_b32 v20, 0 :: v_dual_add_nc_u32 v19, 0xfffffe40, v37
	s_delay_alu instid0(VALU_DEP_1) | instskip(SKIP_1) | instid1(VALU_DEP_3)
	v_lshrrev_b32_e32 v19, 1, v19
	s_waitcnt lgkmcnt(0)
	v_add_co_u32 v17, s1, s6, v17
	s_delay_alu instid0(VALU_DEP_1) | instskip(NEXT) | instid1(VALU_DEP_3)
	v_add_co_ci_u32_e64 v18, s1, s7, v18, s1
	v_lshlrev_b64 v[19:20], 2, v[19:20]
	global_load_b64 v[17:18], v[17:18], off
	s_waitcnt vmcnt(0)
	v_lshlrev_b64 v[17:18], 8, v[17:18]
	s_delay_alu instid0(VALU_DEP_1) | instskip(NEXT) | instid1(VALU_DEP_1)
	v_add_co_u32 v17, s1, s16, v17
	v_add_co_ci_u32_e64 v18, s1, s17, v18, s1
	s_delay_alu instid0(VALU_DEP_2) | instskip(NEXT) | instid1(VALU_DEP_1)
	v_add_co_u32 v17, s1, v17, v19
	v_add_co_ci_u32_e64 v18, s1, v18, v20, s1
	s_clause 0x3
	global_load_b128 v[20:23], v[17:18], off offset:128
	global_load_b128 v[28:31], v[17:18], off offset:144
	global_load_b128 v[39:42], v[17:18], off
	global_load_b128 v[43:46], v[17:18], off offset:16
	s_waitcnt vmcnt(3)
	v_mul_f32_e32 v17, v2, v20
	v_dual_mul_f32 v18, v1, v20 :: v_dual_mul_f32 v19, v4, v21
	v_dual_mul_f32 v20, v3, v21 :: v_dual_mul_f32 v21, v6, v22
	v_mul_f32_e32 v24, v7, v23
	v_dual_mul_f32 v22, v5, v22 :: v_dual_mul_f32 v25, v8, v23
	s_waitcnt vmcnt(2)
	v_dual_mul_f32 v27, v10, v28 :: v_dual_mul_f32 v36, v12, v29
	v_mul_f32_e32 v26, v9, v28
	v_dual_mul_f32 v28, v11, v29 :: v_dual_mul_f32 v47, v16, v31
	v_mul_f32_e32 v29, v14, v30
	v_mul_f32_e32 v30, v13, v30
	;; [unrolled: 1-line block ×3, first 2 shown]
	s_waitcnt vmcnt(1)
	v_fma_f32 v17, v1, v39, -v17
	v_fmac_f32_e32 v18, v2, v39
	v_fma_f32 v19, v3, v40, -v19
	v_fmac_f32_e32 v20, v4, v40
	;; [unrolled: 2-line block ×4, first 2 shown]
	s_waitcnt vmcnt(0)
	v_fma_f32 v25, v9, v43, -v27
	v_fmac_f32_e32 v26, v10, v43
	v_fma_f32 v27, v11, v44, -v36
	v_fmac_f32_e32 v28, v12, v44
	;; [unrolled: 2-line block ×4, first 2 shown]
	v_dual_mov_b32 v1, v17 :: v_dual_mov_b32 v2, v18
	v_dual_mov_b32 v3, v19 :: v_dual_mov_b32 v4, v20
	v_dual_mov_b32 v5, v21 :: v_dual_mov_b32 v6, v22
	v_dual_mov_b32 v7, v23 :: v_dual_mov_b32 v8, v24
	v_dual_mov_b32 v9, v25 :: v_dual_mov_b32 v10, v26
	v_dual_mov_b32 v11, v27 :: v_dual_mov_b32 v12, v28
	v_dual_mov_b32 v13, v29 :: v_dual_mov_b32 v14, v30
	v_dual_mov_b32 v15, v31 :: v_dual_mov_b32 v16, v32
	s_or_b32 exec_lo, exec_lo, s2
	s_and_saveexec_b32 s1, vcc_lo
	s_delay_alu instid0(SALU_CYCLE_1)
	s_xor_b32 s6, exec_lo, s1
	s_cbranch_execnz .LBB1_20
.LBB1_13:
	s_and_not1_saveexec_b32 s0, s6
	s_cbranch_execz .LBB1_15
.LBB1_14:
	v_cvt_f16_f32_e32 v17, v1
	v_ashrrev_i32_e32 v36, 31, v35
	v_lshlrev_b64 v[0:1], 14, v[33:34]
	s_waitcnt lgkmcnt(0)
	v_cvt_f16_f32_e32 v18, v2
	v_cvt_f16_f32_e32 v19, v3
	;; [unrolled: 1-line block ×3, first 2 shown]
	v_lshlrev_b64 v[2:3], 10, v[35:36]
	v_lshlrev_b32_e32 v8, 1, v37
	v_add_co_u32 v0, vcc_lo, s12, v0
	v_add_co_ci_u32_e32 v1, vcc_lo, s13, v1, vcc_lo
	v_cvt_f16_f32_e32 v4, v4
	s_delay_alu instid0(VALU_DEP_3)
	v_add_co_u32 v0, vcc_lo, v0, v2
	v_cvt_f16_f32_e32 v5, v5
	v_cvt_f16_f32_e32 v6, v6
	;; [unrolled: 1-line block ×3, first 2 shown]
	v_add_co_ci_u32_e32 v1, vcc_lo, v1, v3, vcc_lo
	v_cvt_f16_f32_e32 v21, v9
	v_cvt_f16_f32_e32 v10, v10
	;; [unrolled: 1-line block ×8, first 2 shown]
	v_add_co_u32 v8, vcc_lo, v0, v8
	v_add_co_ci_u32_e32 v9, vcc_lo, 0, v1, vcc_lo
	v_pack_b32_f16 v3, v7, v20
	v_pack_b32_f16 v2, v5, v6
	v_pack_b32_f16 v1, v19, v4
	v_pack_b32_f16 v0, v17, v18
	v_pack_b32_f16 v7, v15, v16
	v_pack_b32_f16 v6, v13, v14
	v_pack_b32_f16 v5, v11, v12
	v_pack_b32_f16 v4, v21, v10
	s_clause 0x1
	global_store_b128 v[8:9], v[0:3], off
	global_store_b128 v[8:9], v[4:7], off offset:16
.LBB1_15:
	s_or_b32 exec_lo, exec_lo, s0
                                        ; implicit-def: $vgpr33
                                        ; implicit-def: $vgpr35
                                        ; implicit-def: $vgpr37
.LBB1_16:
	s_and_not1_saveexec_b32 s0, s9
	s_cbranch_execz .LBB1_18
; %bb.17:
	v_ashrrev_i32_e32 v36, 31, v35
	v_lshlrev_b64 v[0:1], 14, v[33:34]
	s_mov_b32 s0, 0
	s_delay_alu instid0(SALU_CYCLE_1) | instskip(NEXT) | instid1(VALU_DEP_2)
	s_mov_b32 s1, s0
	v_lshlrev_b64 v[2:3], 10, v[35:36]
	s_mov_b32 s2, s0
	s_waitcnt lgkmcnt(0)
	v_add_co_u32 v0, vcc_lo, s12, v0
	v_add_co_ci_u32_e32 v1, vcc_lo, s13, v1, vcc_lo
	s_mov_b32 s3, s0
	s_waitcnt vmcnt(0)
	v_lshlrev_b32_e32 v4, 1, v37
	v_add_co_u32 v5, vcc_lo, v0, v2
	v_add_co_ci_u32_e32 v6, vcc_lo, v1, v3, vcc_lo
	v_dual_mov_b32 v0, s0 :: v_dual_mov_b32 v3, s3
	v_mov_b32_e32 v1, s1
	s_delay_alu instid0(VALU_DEP_4)
	v_add_co_u32 v4, vcc_lo, v5, v4
	v_mov_b32_e32 v2, s2
	v_add_co_ci_u32_e32 v5, vcc_lo, 0, v6, vcc_lo
	s_clause 0x1
	global_store_b128 v[4:5], v[0:3], off
	global_store_b128 v[4:5], v[0:3], off offset:16
.LBB1_18:
	s_nop 0
	s_sendmsg sendmsg(MSG_DEALLOC_VGPRS)
	s_endpgm
.LBB1_19:
	s_or_b32 exec_lo, exec_lo, s2
	s_and_saveexec_b32 s1, vcc_lo
	s_waitcnt lgkmcnt(0)
	s_xor_b32 s6, exec_lo, s1
	s_cbranch_execz .LBB1_13
.LBB1_20:
	v_lshlrev_b64 v[17:18], 3, v[33:34]
	s_mov_b32 s7, exec_lo
	s_delay_alu instid0(VALU_DEP_1) | instskip(NEXT) | instid1(VALU_DEP_2)
	v_add_co_u32 v17, vcc_lo, s4, v17
	v_add_co_ci_u32_e32 v18, vcc_lo, s5, v18, vcc_lo
	global_load_b64 v[17:18], v[17:18], off
	s_waitcnt vmcnt(0)
	v_cmpx_lt_i64_e32 -1, v[17:18]
                                        ; implicit-def: $vgpr34
	s_cbranch_execz .LBB1_321
; %bb.21:
	s_ashr_i32 s16, s14, 31
	v_mov_b32_e32 v19, 0
	v_or_b32_e32 v20, s16, v18
	s_mov_b32 s8, s14
	s_delay_alu instid0(VALU_DEP_1) | instskip(SKIP_1) | instid1(SALU_CYCLE_1)
	v_cmp_ne_u64_e32 vcc_lo, 0, v[19:20]
                                        ; implicit-def: $vgpr19_vgpr20
	s_and_saveexec_b32 s1, vcc_lo
	s_xor_b32 s14, exec_lo, s1
	s_cbranch_execz .LBB1_23
; %bb.22:
	s_add_u32 s4, s8, s16
	s_mov_b32 s2, s16
	s_mov_b32 s3, s16
	s_addc_u32 s5, s16, s16
	s_delay_alu instid0(SALU_CYCLE_1) | instskip(NEXT) | instid1(SALU_CYCLE_1)
	s_xor_b64 s[4:5], s[4:5], s[2:3]
	v_cvt_f32_u32_e32 v19, s4
	v_cvt_f32_u32_e32 v20, s5
	s_sub_u32 s1, 0, s4
	s_subb_u32 s17, 0, s5
	s_delay_alu instid0(VALU_DEP_1) | instskip(NEXT) | instid1(VALU_DEP_1)
	v_fmamk_f32 v19, v20, 0x4f800000, v19
	v_rcp_f32_e32 v19, v19
	s_waitcnt_depctr 0xfff
	v_mul_f32_e32 v19, 0x5f7ffffc, v19
	s_delay_alu instid0(VALU_DEP_1) | instskip(NEXT) | instid1(VALU_DEP_1)
	v_mul_f32_e32 v20, 0x2f800000, v19
	v_trunc_f32_e32 v20, v20
	s_delay_alu instid0(VALU_DEP_1) | instskip(SKIP_1) | instid1(VALU_DEP_2)
	v_fmamk_f32 v19, v20, 0xcf800000, v19
	v_cvt_u32_f32_e32 v20, v20
	v_cvt_u32_f32_e32 v19, v19
	s_delay_alu instid0(VALU_DEP_2) | instskip(NEXT) | instid1(VALU_DEP_2)
	v_mul_lo_u32 v21, s1, v20
	v_mul_hi_u32 v22, s1, v19
	v_mul_lo_u32 v23, s17, v19
	s_delay_alu instid0(VALU_DEP_2) | instskip(SKIP_1) | instid1(VALU_DEP_2)
	v_add_nc_u32_e32 v21, v22, v21
	v_mul_lo_u32 v22, s1, v19
	v_add_nc_u32_e32 v21, v21, v23
	s_delay_alu instid0(VALU_DEP_2) | instskip(NEXT) | instid1(VALU_DEP_2)
	v_mul_hi_u32 v23, v19, v22
	v_mul_lo_u32 v24, v19, v21
	v_mul_hi_u32 v25, v19, v21
	v_mul_hi_u32 v26, v20, v22
	v_mul_lo_u32 v22, v20, v22
	v_mul_hi_u32 v27, v20, v21
	v_mul_lo_u32 v21, v20, v21
	v_add_co_u32 v23, vcc_lo, v23, v24
	v_add_co_ci_u32_e32 v24, vcc_lo, 0, v25, vcc_lo
	s_delay_alu instid0(VALU_DEP_2) | instskip(NEXT) | instid1(VALU_DEP_2)
	v_add_co_u32 v22, vcc_lo, v23, v22
	v_add_co_ci_u32_e32 v22, vcc_lo, v24, v26, vcc_lo
	v_add_co_ci_u32_e32 v23, vcc_lo, 0, v27, vcc_lo
	v_ashrrev_i32_e32 v26, 31, v18
	s_delay_alu instid0(VALU_DEP_3) | instskip(NEXT) | instid1(VALU_DEP_3)
	v_add_co_u32 v21, vcc_lo, v22, v21
	v_add_co_ci_u32_e32 v22, vcc_lo, 0, v23, vcc_lo
	s_delay_alu instid0(VALU_DEP_2) | instskip(NEXT) | instid1(VALU_DEP_2)
	v_add_co_u32 v19, vcc_lo, v19, v21
	v_add_co_ci_u32_e32 v20, vcc_lo, v20, v22, vcc_lo
	s_delay_alu instid0(VALU_DEP_2) | instskip(SKIP_1) | instid1(VALU_DEP_3)
	v_mul_hi_u32 v21, s1, v19
	v_mul_lo_u32 v23, s17, v19
	v_mul_lo_u32 v22, s1, v20
	s_delay_alu instid0(VALU_DEP_1) | instskip(SKIP_1) | instid1(VALU_DEP_2)
	v_add_nc_u32_e32 v21, v21, v22
	v_mul_lo_u32 v22, s1, v19
	v_add_nc_u32_e32 v21, v21, v23
	s_delay_alu instid0(VALU_DEP_2) | instskip(NEXT) | instid1(VALU_DEP_2)
	v_mul_hi_u32 v23, v19, v22
	v_mul_lo_u32 v24, v19, v21
	v_mul_hi_u32 v25, v19, v21
	v_mul_hi_u32 v27, v20, v22
	v_mul_lo_u32 v22, v20, v22
	v_mul_hi_u32 v28, v20, v21
	v_mul_lo_u32 v21, v20, v21
	v_add_co_u32 v23, vcc_lo, v23, v24
	v_add_co_ci_u32_e32 v24, vcc_lo, 0, v25, vcc_lo
	s_delay_alu instid0(VALU_DEP_2) | instskip(NEXT) | instid1(VALU_DEP_2)
	v_add_co_u32 v22, vcc_lo, v23, v22
	v_add_co_ci_u32_e32 v22, vcc_lo, v24, v27, vcc_lo
	v_add_co_ci_u32_e32 v23, vcc_lo, 0, v28, vcc_lo
	v_add_co_u32 v24, vcc_lo, v17, v26
	v_add_co_ci_u32_e32 v25, vcc_lo, v18, v26, vcc_lo
	s_delay_alu instid0(VALU_DEP_4) | instskip(NEXT) | instid1(VALU_DEP_4)
	v_add_co_u32 v21, vcc_lo, v22, v21
	v_add_co_ci_u32_e32 v22, vcc_lo, 0, v23, vcc_lo
	s_delay_alu instid0(VALU_DEP_4) | instskip(NEXT) | instid1(VALU_DEP_3)
	v_xor_b32_e32 v27, v24, v26
	v_add_co_u32 v23, vcc_lo, v19, v21
	s_delay_alu instid0(VALU_DEP_3) | instskip(SKIP_1) | instid1(VALU_DEP_3)
	v_add_co_ci_u32_e32 v28, vcc_lo, v20, v22, vcc_lo
	v_xor_b32_e32 v25, v25, v26
	v_mul_hi_u32 v29, v27, v23
	s_delay_alu instid0(VALU_DEP_3) | instskip(NEXT) | instid1(VALU_DEP_3)
	v_mad_u64_u32 v[19:20], null, v27, v28, 0
	v_mad_u64_u32 v[21:22], null, v25, v23, 0
	;; [unrolled: 1-line block ×3, first 2 shown]
	s_delay_alu instid0(VALU_DEP_3) | instskip(NEXT) | instid1(VALU_DEP_4)
	v_add_co_u32 v19, vcc_lo, v29, v19
	v_add_co_ci_u32_e32 v20, vcc_lo, 0, v20, vcc_lo
	s_delay_alu instid0(VALU_DEP_2) | instskip(NEXT) | instid1(VALU_DEP_2)
	v_add_co_u32 v19, vcc_lo, v19, v21
	v_add_co_ci_u32_e32 v19, vcc_lo, v20, v22, vcc_lo
	v_add_co_ci_u32_e32 v20, vcc_lo, 0, v24, vcc_lo
	s_delay_alu instid0(VALU_DEP_2) | instskip(NEXT) | instid1(VALU_DEP_2)
	v_add_co_u32 v21, vcc_lo, v19, v23
	v_add_co_ci_u32_e32 v22, vcc_lo, 0, v20, vcc_lo
	s_delay_alu instid0(VALU_DEP_2) | instskip(SKIP_1) | instid1(VALU_DEP_3)
	v_mul_lo_u32 v23, s5, v21
	v_mad_u64_u32 v[19:20], null, s4, v21, 0
	v_mul_lo_u32 v24, s4, v22
	s_delay_alu instid0(VALU_DEP_2) | instskip(NEXT) | instid1(VALU_DEP_2)
	v_sub_co_u32 v19, vcc_lo, v27, v19
	v_add3_u32 v20, v20, v24, v23
	s_delay_alu instid0(VALU_DEP_1) | instskip(NEXT) | instid1(VALU_DEP_1)
	v_sub_nc_u32_e32 v23, v25, v20
	v_subrev_co_ci_u32_e64 v23, s1, s5, v23, vcc_lo
	v_add_co_u32 v24, s1, v21, 2
	s_delay_alu instid0(VALU_DEP_1) | instskip(SKIP_3) | instid1(VALU_DEP_3)
	v_add_co_ci_u32_e64 v27, s1, 0, v22, s1
	v_sub_co_u32 v28, s1, v19, s4
	v_sub_co_ci_u32_e32 v20, vcc_lo, v25, v20, vcc_lo
	v_subrev_co_ci_u32_e64 v23, s1, 0, v23, s1
	v_cmp_le_u32_e32 vcc_lo, s4, v28
	s_delay_alu instid0(VALU_DEP_3) | instskip(SKIP_1) | instid1(VALU_DEP_4)
	v_cmp_eq_u32_e64 s1, s5, v20
	v_cndmask_b32_e64 v25, 0, -1, vcc_lo
	v_cmp_le_u32_e32 vcc_lo, s5, v23
	v_cndmask_b32_e64 v28, 0, -1, vcc_lo
	v_cmp_le_u32_e32 vcc_lo, s4, v19
	;; [unrolled: 2-line block ×3, first 2 shown]
	v_cndmask_b32_e64 v29, 0, -1, vcc_lo
	v_cmp_eq_u32_e32 vcc_lo, s5, v23
	s_delay_alu instid0(VALU_DEP_2) | instskip(SKIP_3) | instid1(VALU_DEP_3)
	v_cndmask_b32_e64 v19, v29, v19, s1
	v_cndmask_b32_e32 v23, v28, v25, vcc_lo
	v_add_co_u32 v25, vcc_lo, v21, 1
	v_add_co_ci_u32_e32 v28, vcc_lo, 0, v22, vcc_lo
	v_cmp_ne_u32_e32 vcc_lo, 0, v23
	s_delay_alu instid0(VALU_DEP_2) | instskip(SKIP_2) | instid1(VALU_DEP_3)
	v_dual_cndmask_b32 v20, v28, v27 :: v_dual_cndmask_b32 v23, v25, v24
	v_cmp_ne_u32_e32 vcc_lo, 0, v19
	v_xor_b32_e32 v19, s2, v26
	v_dual_cndmask_b32 v21, v21, v23 :: v_dual_cndmask_b32 v20, v22, v20
	v_xor_b32_e32 v22, s3, v26
	s_delay_alu instid0(VALU_DEP_2) | instskip(NEXT) | instid1(VALU_DEP_2)
	v_xor_b32_e32 v21, v21, v19
	v_xor_b32_e32 v20, v20, v22
	s_delay_alu instid0(VALU_DEP_2) | instskip(NEXT) | instid1(VALU_DEP_2)
	v_sub_co_u32 v19, vcc_lo, v21, v19
	v_sub_co_ci_u32_e32 v20, vcc_lo, v20, v22, vcc_lo
.LBB1_23:
	s_and_not1_saveexec_b32 s1, s14
	s_cbranch_execz .LBB1_25
; %bb.24:
	v_cvt_f32_u32_e32 v19, s8
	s_sub_i32 s2, 0, s8
	s_delay_alu instid0(VALU_DEP_1) | instskip(SKIP_2) | instid1(VALU_DEP_1)
	v_rcp_iflag_f32_e32 v19, v19
	s_waitcnt_depctr 0xfff
	v_mul_f32_e32 v19, 0x4f7ffffe, v19
	v_cvt_u32_f32_e32 v19, v19
	s_delay_alu instid0(VALU_DEP_1) | instskip(NEXT) | instid1(VALU_DEP_1)
	v_mul_lo_u32 v20, s2, v19
	v_mul_hi_u32 v20, v19, v20
	s_delay_alu instid0(VALU_DEP_1) | instskip(NEXT) | instid1(VALU_DEP_1)
	v_add_nc_u32_e32 v19, v19, v20
	v_mul_hi_u32 v19, v17, v19
	s_delay_alu instid0(VALU_DEP_1) | instskip(SKIP_1) | instid1(VALU_DEP_2)
	v_mul_lo_u32 v20, v19, s8
	v_add_nc_u32_e32 v21, 1, v19
	v_sub_nc_u32_e32 v20, v17, v20
	s_delay_alu instid0(VALU_DEP_1) | instskip(SKIP_1) | instid1(VALU_DEP_2)
	v_subrev_nc_u32_e32 v22, s8, v20
	v_cmp_le_u32_e32 vcc_lo, s8, v20
	v_dual_cndmask_b32 v20, v20, v22 :: v_dual_cndmask_b32 v19, v19, v21
	s_delay_alu instid0(VALU_DEP_1) | instskip(NEXT) | instid1(VALU_DEP_2)
	v_cmp_le_u32_e32 vcc_lo, s8, v20
	v_dual_mov_b32 v20, 0 :: v_dual_add_nc_u32 v21, 1, v19
	s_delay_alu instid0(VALU_DEP_1)
	v_cndmask_b32_e32 v19, v19, v21, vcc_lo
.LBB1_25:
	s_or_b32 exec_lo, exec_lo, s1
	v_cvt_f16_f32_e32 v34, v1
	v_cvt_f16_f32_e32 v35, v2
	;; [unrolled: 1-line block ×5, first 2 shown]
	v_cvt_f32_f16_e32 v42, v34
	v_cvt_f32_f16_e32 v33, v35
	;; [unrolled: 1-line block ×4, first 2 shown]
	v_cvt_f16_f32_e32 v41, v6
	v_cvt_f32_f16_e32 v30, v40
	v_max3_f32 v1, |v42|, 0, |v33|
	v_cvt_f16_f32_e32 v7, v7
	v_cvt_f16_f32_e32 v43, v8
	v_cvt_f32_f16_e32 v29, v41
	v_cvt_f16_f32_e32 v8, v9
	v_max3_f32 v1, v1, |v32|, |v31|
	v_cvt_f32_f16_e32 v25, v7
	v_cvt_f32_f16_e32 v27, v43
	v_cvt_f16_f32_e32 v9, v10
	v_cvt_f32_f16_e32 v28, v8
	v_max3_f32 v1, v1, |v30|, |v29|
	v_cvt_f16_f32_e32 v10, v11
	v_cvt_f16_f32_e32 v11, v12
	v_cvt_f32_f16_e32 v26, v9
	v_mbcnt_lo_u32_b32 v5, -1, 0
	v_max3_f32 v1, v1, |v25|, |v27|
	v_cvt_f16_f32_e32 v12, v13
	v_cvt_f32_f16_e32 v24, v10
	v_cvt_f32_f16_e32 v23, v11
	v_cvt_f16_f32_e32 v14, v14
	v_max3_f32 v1, v1, |v28|, |v26|
	v_xor_b32_e32 v2, 1, v5
	v_cvt_f32_f16_e32 v22, v12
	v_cvt_f16_f32_e32 v15, v15
	v_cvt_f16_f32_e32 v44, v16
	v_cvt_f32_f16_e32 v21, v14
	v_max3_f32 v1, v1, |v24|, |v23|
	v_cmp_gt_i32_e32 vcc_lo, 32, v2
	v_cvt_f32_f16_e32 v16, v15
	v_cvt_f32_f16_e32 v13, v44
	v_xor_b32_e32 v48, 2, v5
	v_max3_f32 v1, v1, |v22|, |v21|
	v_cndmask_b32_e32 v2, v5, v2, vcc_lo
	s_ashr_i32 s1, s15, 31
	v_mul_lo_u32 v6, v20, s8
	v_cmp_gt_i32_e32 vcc_lo, 32, v48
	v_max3_f32 v45, v1, |v16|, |v13|
	v_lshlrev_b32_e32 v2, 2, v2
	v_mul_lo_u32 v46, v19, s16
	v_mad_u64_u32 v[3:4], null, v19, s15, s[10:11]
	v_mul_lo_u32 v20, v20, s15
	ds_bpermute_b32 v47, v2, v45
	v_mad_u64_u32 v[1:2], null, v19, s8, 0
	v_mul_lo_u32 v19, v19, s1
	s_delay_alu instid0(VALU_DEP_2) | instskip(NEXT) | instid1(VALU_DEP_2)
	v_add3_u32 v2, v2, v46, v6
	v_add3_u32 v4, v20, v4, v19
	v_cndmask_b32_e32 v19, v5, v48, vcc_lo
	v_sub_co_u32 v5, vcc_lo, v17, v1
	s_delay_alu instid0(VALU_DEP_4) | instskip(NEXT) | instid1(VALU_DEP_3)
	v_sub_co_ci_u32_e32 v6, vcc_lo, v18, v2, vcc_lo
	v_lshlrev_b32_e32 v18, 2, v19
	s_delay_alu instid0(VALU_DEP_3) | instskip(SKIP_2) | instid1(VALU_DEP_1)
	v_mad_u64_u32 v[1:2], null, 0x240, v5, v[3:4]
	s_waitcnt lgkmcnt(0)
	v_max_f32_e32 v17, v47, v47
	v_max_f32_e32 v17, v45, v17
	s_delay_alu instid0(VALU_DEP_3) | instskip(SKIP_3) | instid1(SALU_CYCLE_1)
	v_mad_u64_u32 v[19:20], null, 0x240, v6, v[2:3]
	ds_bpermute_b32 v18, v18, v17
	v_mov_b32_e32 v2, v19
	s_and_saveexec_b32 s1, s0
	s_xor_b32 s1, exec_lo, s1
	s_cbranch_execz .LBB1_319
; %bb.26:
	s_waitcnt lgkmcnt(0)
	v_max3_f32 v7, v17, v18, 0x38d1b717
	s_mov_b32 s0, 0xc3e00000
	s_delay_alu instid0(VALU_DEP_1) | instskip(SKIP_1) | instid1(VALU_DEP_2)
	v_div_scale_f32 v8, null, 0x43e00000, 0x43e00000, v7
	v_div_scale_f32 v11, vcc_lo, v7, 0x43e00000, v7
	v_rcp_f32_e32 v9, v8
	s_waitcnt_depctr 0xfff
	v_fma_f32 v10, -v8, v9, 1.0
	s_delay_alu instid0(VALU_DEP_1) | instskip(NEXT) | instid1(VALU_DEP_1)
	v_fmac_f32_e32 v9, v10, v9
	v_mul_f32_e32 v10, v11, v9
	s_delay_alu instid0(VALU_DEP_1) | instskip(NEXT) | instid1(VALU_DEP_1)
	v_fma_f32 v12, -v8, v10, v11
	v_fmac_f32_e32 v10, v12, v9
	s_delay_alu instid0(VALU_DEP_1) | instskip(NEXT) | instid1(VALU_DEP_1)
	v_fma_f32 v8, -v8, v10, v11
	v_div_fmas_f32 v8, v8, v9, v10
	s_delay_alu instid0(VALU_DEP_1) | instskip(NEXT) | instid1(VALU_DEP_1)
	v_div_fixup_f32 v7, v8, 0x43e00000, v7
	v_cmp_gt_f32_e32 vcc_lo, 0x800000, v7
	v_cndmask_b32_e64 v8, 1.0, 0x4f800000, vcc_lo
	s_delay_alu instid0(VALU_DEP_1) | instskip(SKIP_1) | instid1(VALU_DEP_2)
	v_mul_f32_e32 v7, v7, v8
	v_cndmask_b32_e64 v8, 0, 0x42000000, vcc_lo
	v_log_f32_e32 v7, v7
	s_waitcnt_depctr 0xfff
	v_sub_f32_e32 v7, v7, v8
	s_delay_alu instid0(VALU_DEP_1) | instskip(NEXT) | instid1(VALU_DEP_1)
	v_ceil_f32_e32 v11, v7
	v_cmp_lt_f32_e32 vcc_lo, 0x42fc0000, v11
	v_cndmask_b32_e64 v7, 0, 0x42800000, vcc_lo
	v_cndmask_b32_e64 v8, 1.0, 0x1f800000, vcc_lo
	s_delay_alu instid0(VALU_DEP_2) | instskip(NEXT) | instid1(VALU_DEP_1)
	v_sub_f32_e32 v7, v7, v11
	v_exp_f32_e32 v7, v7
	s_waitcnt_depctr 0xfff
	v_mul_f32_e32 v14, v7, v8
	s_delay_alu instid0(VALU_DEP_1) | instskip(NEXT) | instid1(VALU_DEP_1)
	v_dual_mov_b32 v8, 0 :: v_dual_mul_f32 v7, v14, v42
	v_mov_b32_e32 v18, v8
	s_delay_alu instid0(VALU_DEP_2) | instskip(SKIP_1) | instid1(VALU_DEP_1)
	v_maxmin_f32 v9, v7, s0, 0x43e00000
	s_mov_b32 s0, exec_lo
	v_lshrrev_b32_e32 v10, 24, v9
	v_and_b32_e32 v17, 0x7f800000, v9
	v_and_b32_e32 v7, 0x7fffff, v9
	s_delay_alu instid0(VALU_DEP_3) | instskip(NEXT) | instid1(VALU_DEP_1)
	v_and_b32_e32 v15, 0x80, v10
	v_or_b32_e32 v12, 0x7e, v15
	s_delay_alu instid0(VALU_DEP_4)
	v_cmpx_ne_u64_e32 0x7f800000, v[17:18]
	s_xor_b32 s2, exec_lo, s0
	s_cbranch_execz .LBB1_42
; %bb.27:
	v_dual_mov_b32 v18, v8 :: v_dual_and_b32 v17, 0x7fffffff, v9
	s_mov_b32 s0, exec_lo
	s_delay_alu instid0(VALU_DEP_1)
	v_cmpx_gt_u64_e32 0x43e00001, v[17:18]
	s_xor_b32 s3, exec_lo, s0
	s_cbranch_execz .LBB1_41
; %bb.28:
	v_mov_b32_e32 v12, 0
	s_mov_b32 s4, exec_lo
	v_cmpx_ne_u32_e32 0, v9
	s_cbranch_execz .LBB1_40
; %bb.29:
	v_bfe_u32 v12, v9, 23, 8
	v_or_b32_e32 v18, 0x800000, v7
	s_delay_alu instid0(VALU_DEP_2) | instskip(SKIP_1) | instid1(VALU_DEP_2)
	v_sub_nc_u32_e32 v9, 0x79, v12
	v_cmp_gt_u32_e32 vcc_lo, 0x7a, v12
	v_cndmask_b32_e32 v9, 0, v9, vcc_lo
	v_cmp_eq_u32_e32 vcc_lo, 0, v12
	s_delay_alu instid0(VALU_DEP_2) | instskip(NEXT) | instid1(VALU_DEP_1)
	v_cndmask_b32_e64 v17, v9, 0x78, vcc_lo
	v_dual_cndmask_b32 v7, v18, v7 :: v_dual_add_nc_u32 v18, 19, v17
	v_add_nc_u32_e32 v9, 20, v17
	s_delay_alu instid0(VALU_DEP_1) | instskip(NEXT) | instid1(VALU_DEP_1)
	v_lshlrev_b64 v[9:10], v9, -1
	v_not_b32_e32 v20, v9
	s_delay_alu instid0(VALU_DEP_2) | instskip(SKIP_1) | instid1(VALU_DEP_3)
	v_not_b32_e32 v19, v10
	v_lshlrev_b64 v[9:10], v18, 1
	v_and_b32_e32 v18, v7, v20
	v_lshrrev_b64 v[7:8], v17, v[7:8]
	s_delay_alu instid0(VALU_DEP_4) | instskip(NEXT) | instid1(VALU_DEP_1)
	v_and_b32_e32 v19, 0, v19
	v_cmp_eq_u64_e64 s0, v[18:19], v[9:10]
	s_delay_alu instid0(VALU_DEP_3) | instskip(NEXT) | instid1(VALU_DEP_2)
	v_dual_mov_b32 v10, v8 :: v_dual_mov_b32 v9, v7
	s_and_saveexec_b32 s5, s0
; %bb.30:
	v_bfe_u32 v9, v7, 20, 1
	s_delay_alu instid0(VALU_DEP_1) | instskip(NEXT) | instid1(VALU_DEP_1)
	v_add_co_u32 v9, s0, v7, v9
	v_add_co_u32 v9, s0, v9, -1
; %bb.31:
	s_or_b32 exec_lo, exec_lo, s5
	v_add_nc_u32_e32 v10, 0xffffff81, v12
	v_lshrrev_b32_e32 v12, 23, v7
	s_delay_alu instid0(VALU_DEP_3) | instskip(SKIP_1) | instid1(VALU_DEP_3)
	v_and_b32_e32 v9, 0xfffff, v9
	s_mov_b32 s0, exec_lo
	v_cndmask_b32_e64 v10, v10, 0xffffff82, vcc_lo
	s_delay_alu instid0(VALU_DEP_2) | instskip(SKIP_1) | instid1(VALU_DEP_3)
	v_add_co_u32 v7, vcc_lo, v9, v7
	v_add_co_ci_u32_e32 v8, vcc_lo, 0, v8, vcc_lo
	v_add3_u32 v10, v17, v10, v12
                                        ; implicit-def: $vgpr9
	s_delay_alu instid0(VALU_DEP_1) | instskip(NEXT) | instid1(VALU_DEP_1)
	v_add_nc_u32_e32 v12, 6, v10
	v_cmpx_ne_u32_e32 0, v12
	s_xor_b32 s0, exec_lo, s0
; %bb.32:
	v_cmp_lt_u64_e32 vcc_lo, 0xffffff, v[7:8]
	v_add_nc_u32_e32 v9, 7, v10
	v_cndmask_b32_e64 v10, 0, 1, vcc_lo
	s_delay_alu instid0(VALU_DEP_2) | instskip(NEXT) | instid1(VALU_DEP_2)
	v_cndmask_b32_e32 v9, v12, v9, vcc_lo
	v_lshrrev_b64 v[7:8], v10, v[7:8]
; %bb.33:
	s_and_not1_saveexec_b32 s0, s0
; %bb.34:
	s_delay_alu instid0(VALU_DEP_1)
	v_bfe_u32 v9, v7, 23, 1
; %bb.35:
	s_or_b32 exec_lo, exec_lo, s0
	s_delay_alu instid0(VALU_DEP_2) | instskip(NEXT) | instid1(VALU_DEP_2)
	v_lshrrev_b64 v[7:8], 20, v[7:8]
	v_cmp_gt_i32_e32 vcc_lo, 16, v9
	v_cmp_ne_u32_e64 s0, 0, v9
                                        ; implicit-def: $vgpr12
	s_delay_alu instid0(VALU_DEP_3) | instskip(NEXT) | instid1(VALU_DEP_1)
	v_dual_cndmask_b32 v8, 0, v8 :: v_dual_cndmask_b32 v7, 7, v7
	v_cmp_ne_u64_e32 vcc_lo, 0, v[7:8]
	s_delay_alu instid0(VALU_DEP_3) | instskip(NEXT) | instid1(SALU_CYCLE_1)
	s_or_b32 s0, s0, vcc_lo
	s_and_saveexec_b32 s5, s0
	s_delay_alu instid0(SALU_CYCLE_1)
	s_xor_b32 s0, exec_lo, s5
; %bb.36:
	v_min_i32_e32 v8, 15, v9
	s_delay_alu instid0(VALU_DEP_1) | instskip(NEXT) | instid1(VALU_DEP_1)
	v_lshl_or_b32 v8, v8, 3, v15
                                        ; implicit-def: $vgpr15
	v_and_or_b32 v12, v7, 7, v8
; %bb.37:
	s_and_not1_saveexec_b32 s0, s0
; %bb.38:
	v_mov_b32_e32 v12, v15
; %bb.39:
	s_or_b32 exec_lo, exec_lo, s0
.LBB1_40:
	s_delay_alu instid0(SALU_CYCLE_1)
	s_or_b32 exec_lo, exec_lo, s4
.LBB1_41:
	s_and_not1_saveexec_b32 s0, s3
	s_delay_alu instid0(SALU_CYCLE_1)
	s_or_b32 exec_lo, exec_lo, s0
                                        ; implicit-def: $vgpr10
                                        ; implicit-def: $vgpr7_vgpr8
.LBB1_42:
	s_and_not1_saveexec_b32 s0, s2
; %bb.43:
	v_cmp_eq_u64_e32 vcc_lo, 0, v[7:8]
	v_or_b32_e32 v9, 0x7f, v10
	s_delay_alu instid0(VALU_DEP_1)
	v_cndmask_b32_e32 v12, v9, v12, vcc_lo
; %bb.44:
	s_or_b32 exec_lo, exec_lo, s0
	v_dual_mul_f32 v7, v14, v33 :: v_dual_mov_b32 v8, 0
	s_mov_b32 s0, 0xc3e00000
	s_delay_alu instid0(VALU_DEP_1) | instid1(SALU_CYCLE_1)
	v_maxmin_f32 v9, v7, s0, 0x43e00000
	s_mov_b32 s0, exec_lo
	s_delay_alu instid0(VALU_DEP_2) | instskip(NEXT) | instid1(VALU_DEP_2)
	v_mov_b32_e32 v19, v8
	v_lshrrev_b32_e32 v10, 24, v9
	v_and_b32_e32 v18, 0x7f800000, v9
	v_and_b32_e32 v7, 0x7fffff, v9
	s_delay_alu instid0(VALU_DEP_3) | instskip(NEXT) | instid1(VALU_DEP_1)
	v_and_b32_e32 v17, 0x80, v10
	v_or_b32_e32 v15, 0x7e, v17
	s_delay_alu instid0(VALU_DEP_4)
	v_cmpx_ne_u64_e32 0x7f800000, v[18:19]
	s_xor_b32 s2, exec_lo, s0
	s_cbranch_execz .LBB1_60
; %bb.45:
	v_dual_mov_b32 v19, v8 :: v_dual_and_b32 v18, 0x7fffffff, v9
	s_mov_b32 s0, exec_lo
	s_delay_alu instid0(VALU_DEP_1)
	v_cmpx_gt_u64_e32 0x43e00001, v[18:19]
	s_xor_b32 s3, exec_lo, s0
	s_cbranch_execz .LBB1_59
; %bb.46:
	v_mov_b32_e32 v15, 0
	s_mov_b32 s4, exec_lo
	v_cmpx_ne_u32_e32 0, v9
	s_cbranch_execz .LBB1_58
; %bb.47:
	v_bfe_u32 v15, v9, 23, 8
	v_or_b32_e32 v19, 0x800000, v7
	s_delay_alu instid0(VALU_DEP_2) | instskip(SKIP_1) | instid1(VALU_DEP_2)
	v_sub_nc_u32_e32 v9, 0x79, v15
	v_cmp_gt_u32_e32 vcc_lo, 0x7a, v15
	v_cndmask_b32_e32 v9, 0, v9, vcc_lo
	v_cmp_eq_u32_e32 vcc_lo, 0, v15
	s_delay_alu instid0(VALU_DEP_2) | instskip(SKIP_1) | instid1(VALU_DEP_2)
	v_cndmask_b32_e64 v18, v9, 0x78, vcc_lo
	v_cndmask_b32_e32 v7, v19, v7, vcc_lo
	v_add_nc_u32_e32 v9, 20, v18
	v_add_nc_u32_e32 v19, 19, v18
	s_delay_alu instid0(VALU_DEP_2) | instskip(NEXT) | instid1(VALU_DEP_1)
	v_lshlrev_b64 v[9:10], v9, -1
	v_not_b32_e32 v33, v9
	s_delay_alu instid0(VALU_DEP_2) | instskip(NEXT) | instid1(VALU_DEP_4)
	v_not_b32_e32 v20, v10
	v_lshlrev_b64 v[9:10], v19, 1
	s_delay_alu instid0(VALU_DEP_3) | instskip(SKIP_1) | instid1(VALU_DEP_4)
	v_and_b32_e32 v19, v7, v33
	v_lshrrev_b64 v[7:8], v18, v[7:8]
	v_and_b32_e32 v20, 0, v20
	s_delay_alu instid0(VALU_DEP_1) | instskip(NEXT) | instid1(VALU_DEP_3)
	v_cmp_eq_u64_e64 s0, v[19:20], v[9:10]
	v_dual_mov_b32 v10, v8 :: v_dual_mov_b32 v9, v7
	s_delay_alu instid0(VALU_DEP_2)
	s_and_saveexec_b32 s5, s0
; %bb.48:
	v_bfe_u32 v9, v7, 20, 1
	s_delay_alu instid0(VALU_DEP_1) | instskip(NEXT) | instid1(VALU_DEP_1)
	v_add_co_u32 v9, s0, v7, v9
	v_add_co_u32 v9, s0, v9, -1
; %bb.49:
	s_or_b32 exec_lo, exec_lo, s5
	v_add_nc_u32_e32 v10, 0xffffff81, v15
	v_lshrrev_b32_e32 v15, 23, v7
	s_delay_alu instid0(VALU_DEP_3) | instskip(SKIP_1) | instid1(VALU_DEP_3)
	v_and_b32_e32 v9, 0xfffff, v9
	s_mov_b32 s0, exec_lo
	v_cndmask_b32_e64 v10, v10, 0xffffff82, vcc_lo
	s_delay_alu instid0(VALU_DEP_2) | instskip(SKIP_1) | instid1(VALU_DEP_3)
	v_add_co_u32 v7, vcc_lo, v9, v7
	v_add_co_ci_u32_e32 v8, vcc_lo, 0, v8, vcc_lo
	v_add3_u32 v10, v18, v10, v15
                                        ; implicit-def: $vgpr9
	s_delay_alu instid0(VALU_DEP_1) | instskip(NEXT) | instid1(VALU_DEP_1)
	v_add_nc_u32_e32 v15, 6, v10
	v_cmpx_ne_u32_e32 0, v15
	s_xor_b32 s0, exec_lo, s0
; %bb.50:
	v_cmp_lt_u64_e32 vcc_lo, 0xffffff, v[7:8]
	v_add_nc_u32_e32 v9, 7, v10
	v_cndmask_b32_e64 v10, 0, 1, vcc_lo
	s_delay_alu instid0(VALU_DEP_2) | instskip(NEXT) | instid1(VALU_DEP_2)
	v_cndmask_b32_e32 v9, v15, v9, vcc_lo
	v_lshrrev_b64 v[7:8], v10, v[7:8]
; %bb.51:
	s_and_not1_saveexec_b32 s0, s0
; %bb.52:
	s_delay_alu instid0(VALU_DEP_1)
	v_bfe_u32 v9, v7, 23, 1
; %bb.53:
	s_or_b32 exec_lo, exec_lo, s0
	s_delay_alu instid0(VALU_DEP_2) | instskip(NEXT) | instid1(VALU_DEP_2)
	v_lshrrev_b64 v[7:8], 20, v[7:8]
	v_cmp_gt_i32_e32 vcc_lo, 16, v9
	v_cmp_ne_u32_e64 s0, 0, v9
                                        ; implicit-def: $vgpr15
	s_delay_alu instid0(VALU_DEP_3) | instskip(NEXT) | instid1(VALU_DEP_1)
	v_dual_cndmask_b32 v8, 0, v8 :: v_dual_cndmask_b32 v7, 7, v7
	v_cmp_ne_u64_e32 vcc_lo, 0, v[7:8]
	s_delay_alu instid0(VALU_DEP_3) | instskip(NEXT) | instid1(SALU_CYCLE_1)
	s_or_b32 s0, s0, vcc_lo
	s_and_saveexec_b32 s5, s0
	s_delay_alu instid0(SALU_CYCLE_1)
	s_xor_b32 s0, exec_lo, s5
; %bb.54:
	v_min_i32_e32 v8, 15, v9
	s_delay_alu instid0(VALU_DEP_1) | instskip(NEXT) | instid1(VALU_DEP_1)
	v_lshl_or_b32 v8, v8, 3, v17
                                        ; implicit-def: $vgpr17
	v_and_or_b32 v15, v7, 7, v8
; %bb.55:
	s_and_not1_saveexec_b32 s0, s0
; %bb.56:
	v_mov_b32_e32 v15, v17
; %bb.57:
	s_or_b32 exec_lo, exec_lo, s0
.LBB1_58:
	s_delay_alu instid0(SALU_CYCLE_1)
	s_or_b32 exec_lo, exec_lo, s4
.LBB1_59:
	s_and_not1_saveexec_b32 s0, s3
	s_delay_alu instid0(SALU_CYCLE_1)
	s_or_b32 exec_lo, exec_lo, s0
                                        ; implicit-def: $vgpr10
                                        ; implicit-def: $vgpr7_vgpr8
.LBB1_60:
	s_and_not1_saveexec_b32 s0, s2
; %bb.61:
	v_cmp_eq_u64_e32 vcc_lo, 0, v[7:8]
	v_or_b32_e32 v9, 0x7f, v10
	s_delay_alu instid0(VALU_DEP_1)
	v_cndmask_b32_e32 v15, v9, v15, vcc_lo
; %bb.62:
	s_or_b32 exec_lo, exec_lo, s0
	v_dual_mul_f32 v7, v14, v32 :: v_dual_mov_b32 v8, 0
	s_mov_b32 s0, 0xc3e00000
	s_delay_alu instid0(VALU_DEP_1) | instid1(SALU_CYCLE_1)
	v_maxmin_f32 v9, v7, s0, 0x43e00000
	s_mov_b32 s0, exec_lo
	s_delay_alu instid0(VALU_DEP_2) | instskip(NEXT) | instid1(VALU_DEP_2)
	v_mov_b32_e32 v20, v8
	v_lshrrev_b32_e32 v10, 24, v9
	v_and_b32_e32 v19, 0x7f800000, v9
	v_and_b32_e32 v7, 0x7fffff, v9
	s_delay_alu instid0(VALU_DEP_3) | instskip(NEXT) | instid1(VALU_DEP_1)
	v_and_b32_e32 v18, 0x80, v10
	v_or_b32_e32 v17, 0x7e, v18
	s_delay_alu instid0(VALU_DEP_4)
	v_cmpx_ne_u64_e32 0x7f800000, v[19:20]
	s_xor_b32 s2, exec_lo, s0
	s_cbranch_execz .LBB1_78
; %bb.63:
	v_dual_mov_b32 v20, v8 :: v_dual_and_b32 v19, 0x7fffffff, v9
	s_mov_b32 s0, exec_lo
	s_delay_alu instid0(VALU_DEP_1)
	v_cmpx_gt_u64_e32 0x43e00001, v[19:20]
	s_xor_b32 s3, exec_lo, s0
	s_cbranch_execz .LBB1_77
; %bb.64:
	v_mov_b32_e32 v17, 0
	s_mov_b32 s4, exec_lo
	v_cmpx_ne_u32_e32 0, v9
	s_cbranch_execz .LBB1_76
; %bb.65:
	v_bfe_u32 v17, v9, 23, 8
	v_or_b32_e32 v20, 0x800000, v7
	s_delay_alu instid0(VALU_DEP_2) | instskip(SKIP_1) | instid1(VALU_DEP_2)
	v_sub_nc_u32_e32 v9, 0x79, v17
	v_cmp_gt_u32_e32 vcc_lo, 0x7a, v17
	v_cndmask_b32_e32 v9, 0, v9, vcc_lo
	v_cmp_eq_u32_e32 vcc_lo, 0, v17
	s_delay_alu instid0(VALU_DEP_2) | instskip(SKIP_1) | instid1(VALU_DEP_2)
	v_cndmask_b32_e64 v19, v9, 0x78, vcc_lo
	v_cndmask_b32_e32 v7, v20, v7, vcc_lo
	v_add_nc_u32_e32 v20, 19, v19
	v_add_nc_u32_e32 v9, 20, v19
	s_delay_alu instid0(VALU_DEP_1) | instskip(NEXT) | instid1(VALU_DEP_1)
	v_lshlrev_b64 v[9:10], v9, -1
	v_not_b32_e32 v32, v10
	s_delay_alu instid0(VALU_DEP_2) | instskip(SKIP_1) | instid1(VALU_DEP_3)
	v_not_b32_e32 v34, v9
	v_lshlrev_b64 v[9:10], v20, 1
	v_and_b32_e32 v33, 0, v32
	s_delay_alu instid0(VALU_DEP_3) | instskip(SKIP_1) | instid1(VALU_DEP_2)
	v_and_b32_e32 v32, v7, v34
	v_lshrrev_b64 v[7:8], v19, v[7:8]
	v_cmp_eq_u64_e64 s0, v[32:33], v[9:10]
	s_delay_alu instid0(VALU_DEP_2) | instskip(NEXT) | instid1(VALU_DEP_2)
	v_dual_mov_b32 v10, v8 :: v_dual_mov_b32 v9, v7
	s_and_saveexec_b32 s5, s0
; %bb.66:
	v_bfe_u32 v9, v7, 20, 1
	s_delay_alu instid0(VALU_DEP_1) | instskip(NEXT) | instid1(VALU_DEP_1)
	v_add_co_u32 v9, s0, v7, v9
	v_add_co_u32 v9, s0, v9, -1
; %bb.67:
	s_or_b32 exec_lo, exec_lo, s5
	v_add_nc_u32_e32 v10, 0xffffff81, v17
	v_lshrrev_b32_e32 v17, 23, v7
	s_delay_alu instid0(VALU_DEP_3) | instskip(SKIP_1) | instid1(VALU_DEP_3)
	v_and_b32_e32 v9, 0xfffff, v9
	s_mov_b32 s0, exec_lo
	v_cndmask_b32_e64 v10, v10, 0xffffff82, vcc_lo
	s_delay_alu instid0(VALU_DEP_2) | instskip(SKIP_1) | instid1(VALU_DEP_3)
	v_add_co_u32 v7, vcc_lo, v9, v7
	v_add_co_ci_u32_e32 v8, vcc_lo, 0, v8, vcc_lo
	v_add3_u32 v10, v19, v10, v17
                                        ; implicit-def: $vgpr9
	s_delay_alu instid0(VALU_DEP_1) | instskip(NEXT) | instid1(VALU_DEP_1)
	v_add_nc_u32_e32 v17, 6, v10
	v_cmpx_ne_u32_e32 0, v17
	s_xor_b32 s0, exec_lo, s0
; %bb.68:
	v_cmp_lt_u64_e32 vcc_lo, 0xffffff, v[7:8]
	v_add_nc_u32_e32 v9, 7, v10
	v_cndmask_b32_e64 v10, 0, 1, vcc_lo
	s_delay_alu instid0(VALU_DEP_2) | instskip(NEXT) | instid1(VALU_DEP_2)
	v_cndmask_b32_e32 v9, v17, v9, vcc_lo
	v_lshrrev_b64 v[7:8], v10, v[7:8]
; %bb.69:
	s_and_not1_saveexec_b32 s0, s0
; %bb.70:
	s_delay_alu instid0(VALU_DEP_1)
	v_bfe_u32 v9, v7, 23, 1
; %bb.71:
	s_or_b32 exec_lo, exec_lo, s0
	s_delay_alu instid0(VALU_DEP_2) | instskip(NEXT) | instid1(VALU_DEP_2)
	v_lshrrev_b64 v[7:8], 20, v[7:8]
	v_cmp_gt_i32_e32 vcc_lo, 16, v9
	v_cmp_ne_u32_e64 s0, 0, v9
                                        ; implicit-def: $vgpr17
	s_delay_alu instid0(VALU_DEP_3) | instskip(NEXT) | instid1(VALU_DEP_1)
	v_dual_cndmask_b32 v8, 0, v8 :: v_dual_cndmask_b32 v7, 7, v7
	v_cmp_ne_u64_e32 vcc_lo, 0, v[7:8]
	s_delay_alu instid0(VALU_DEP_3) | instskip(NEXT) | instid1(SALU_CYCLE_1)
	s_or_b32 s0, s0, vcc_lo
	s_and_saveexec_b32 s5, s0
	s_delay_alu instid0(SALU_CYCLE_1)
	s_xor_b32 s0, exec_lo, s5
; %bb.72:
	v_min_i32_e32 v8, 15, v9
	s_delay_alu instid0(VALU_DEP_1) | instskip(NEXT) | instid1(VALU_DEP_1)
	v_lshl_or_b32 v8, v8, 3, v18
                                        ; implicit-def: $vgpr18
	v_and_or_b32 v17, v7, 7, v8
; %bb.73:
	s_and_not1_saveexec_b32 s0, s0
; %bb.74:
	v_mov_b32_e32 v17, v18
; %bb.75:
	s_or_b32 exec_lo, exec_lo, s0
.LBB1_76:
	s_delay_alu instid0(SALU_CYCLE_1)
	s_or_b32 exec_lo, exec_lo, s4
.LBB1_77:
	s_and_not1_saveexec_b32 s0, s3
	s_delay_alu instid0(SALU_CYCLE_1)
	s_or_b32 exec_lo, exec_lo, s0
                                        ; implicit-def: $vgpr10
                                        ; implicit-def: $vgpr7_vgpr8
.LBB1_78:
	s_and_not1_saveexec_b32 s0, s2
; %bb.79:
	v_cmp_eq_u64_e32 vcc_lo, 0, v[7:8]
	v_or_b32_e32 v9, 0x7f, v10
	s_delay_alu instid0(VALU_DEP_1)
	v_cndmask_b32_e32 v17, v9, v17, vcc_lo
; %bb.80:
	s_or_b32 exec_lo, exec_lo, s0
	v_dual_mul_f32 v7, v14, v31 :: v_dual_mov_b32 v8, 0
	s_mov_b32 s0, 0xc3e00000
	s_delay_alu instid0(VALU_DEP_1) | instid1(SALU_CYCLE_1)
	v_maxmin_f32 v9, v7, s0, 0x43e00000
	s_mov_b32 s0, exec_lo
	s_delay_alu instid0(VALU_DEP_2) | instskip(NEXT) | instid1(VALU_DEP_2)
	v_mov_b32_e32 v32, v8
	v_lshrrev_b32_e32 v10, 24, v9
	v_and_b32_e32 v31, 0x7f800000, v9
	v_and_b32_e32 v7, 0x7fffff, v9
	s_delay_alu instid0(VALU_DEP_3) | instskip(NEXT) | instid1(VALU_DEP_1)
	v_and_b32_e32 v19, 0x80, v10
	v_or_b32_e32 v18, 0x7e, v19
	s_delay_alu instid0(VALU_DEP_4)
	v_cmpx_ne_u64_e32 0x7f800000, v[31:32]
	s_xor_b32 s2, exec_lo, s0
	s_cbranch_execz .LBB1_96
; %bb.81:
	v_dual_mov_b32 v32, v8 :: v_dual_and_b32 v31, 0x7fffffff, v9
	s_mov_b32 s0, exec_lo
	s_delay_alu instid0(VALU_DEP_1)
	v_cmpx_gt_u64_e32 0x43e00001, v[31:32]
	s_xor_b32 s3, exec_lo, s0
	s_cbranch_execz .LBB1_95
; %bb.82:
	v_mov_b32_e32 v18, 0
	s_mov_b32 s4, exec_lo
	v_cmpx_ne_u32_e32 0, v9
	s_cbranch_execz .LBB1_94
; %bb.83:
	v_bfe_u32 v18, v9, 23, 8
	v_or_b32_e32 v31, 0x800000, v7
	s_delay_alu instid0(VALU_DEP_2) | instskip(SKIP_1) | instid1(VALU_DEP_2)
	v_sub_nc_u32_e32 v9, 0x79, v18
	v_cmp_gt_u32_e32 vcc_lo, 0x7a, v18
	v_cndmask_b32_e32 v9, 0, v9, vcc_lo
	v_cmp_eq_u32_e32 vcc_lo, 0, v18
	s_delay_alu instid0(VALU_DEP_2) | instskip(SKIP_1) | instid1(VALU_DEP_2)
	v_cndmask_b32_e64 v20, v9, 0x78, vcc_lo
	v_cndmask_b32_e32 v7, v31, v7, vcc_lo
	v_add_nc_u32_e32 v9, 20, v20
	v_add_nc_u32_e32 v31, 19, v20
	s_delay_alu instid0(VALU_DEP_2) | instskip(NEXT) | instid1(VALU_DEP_1)
	v_lshlrev_b64 v[9:10], v9, -1
	v_not_b32_e32 v33, v9
	s_delay_alu instid0(VALU_DEP_2) | instskip(NEXT) | instid1(VALU_DEP_4)
	v_not_b32_e32 v32, v10
	v_lshlrev_b64 v[9:10], v31, 1
	s_delay_alu instid0(VALU_DEP_3) | instskip(SKIP_1) | instid1(VALU_DEP_4)
	v_and_b32_e32 v31, v7, v33
	v_lshrrev_b64 v[7:8], v20, v[7:8]
	v_and_b32_e32 v32, 0, v32
	s_delay_alu instid0(VALU_DEP_1) | instskip(NEXT) | instid1(VALU_DEP_3)
	v_cmp_eq_u64_e64 s0, v[31:32], v[9:10]
	v_dual_mov_b32 v10, v8 :: v_dual_mov_b32 v9, v7
	s_delay_alu instid0(VALU_DEP_2)
	s_and_saveexec_b32 s5, s0
; %bb.84:
	v_bfe_u32 v9, v7, 20, 1
	s_delay_alu instid0(VALU_DEP_1) | instskip(NEXT) | instid1(VALU_DEP_1)
	v_add_co_u32 v9, s0, v7, v9
	v_add_co_u32 v9, s0, v9, -1
; %bb.85:
	s_or_b32 exec_lo, exec_lo, s5
	v_add_nc_u32_e32 v10, 0xffffff81, v18
	v_lshrrev_b32_e32 v18, 23, v7
	s_delay_alu instid0(VALU_DEP_3) | instskip(SKIP_1) | instid1(VALU_DEP_3)
	v_and_b32_e32 v9, 0xfffff, v9
	s_mov_b32 s0, exec_lo
	v_cndmask_b32_e64 v10, v10, 0xffffff82, vcc_lo
	s_delay_alu instid0(VALU_DEP_2) | instskip(SKIP_1) | instid1(VALU_DEP_3)
	v_add_co_u32 v7, vcc_lo, v9, v7
	v_add_co_ci_u32_e32 v8, vcc_lo, 0, v8, vcc_lo
	v_add3_u32 v10, v20, v10, v18
                                        ; implicit-def: $vgpr9
	s_delay_alu instid0(VALU_DEP_1) | instskip(NEXT) | instid1(VALU_DEP_1)
	v_add_nc_u32_e32 v18, 6, v10
	v_cmpx_ne_u32_e32 0, v18
	s_xor_b32 s0, exec_lo, s0
; %bb.86:
	v_cmp_lt_u64_e32 vcc_lo, 0xffffff, v[7:8]
	v_add_nc_u32_e32 v9, 7, v10
	v_cndmask_b32_e64 v10, 0, 1, vcc_lo
	s_delay_alu instid0(VALU_DEP_2) | instskip(NEXT) | instid1(VALU_DEP_2)
	v_cndmask_b32_e32 v9, v18, v9, vcc_lo
	v_lshrrev_b64 v[7:8], v10, v[7:8]
; %bb.87:
	s_and_not1_saveexec_b32 s0, s0
; %bb.88:
	s_delay_alu instid0(VALU_DEP_1)
	v_bfe_u32 v9, v7, 23, 1
; %bb.89:
	s_or_b32 exec_lo, exec_lo, s0
	s_delay_alu instid0(VALU_DEP_2) | instskip(NEXT) | instid1(VALU_DEP_2)
	v_lshrrev_b64 v[7:8], 20, v[7:8]
	v_cmp_gt_i32_e32 vcc_lo, 16, v9
	v_cmp_ne_u32_e64 s0, 0, v9
                                        ; implicit-def: $vgpr18
	s_delay_alu instid0(VALU_DEP_3) | instskip(NEXT) | instid1(VALU_DEP_1)
	v_dual_cndmask_b32 v8, 0, v8 :: v_dual_cndmask_b32 v7, 7, v7
	v_cmp_ne_u64_e32 vcc_lo, 0, v[7:8]
	s_delay_alu instid0(VALU_DEP_3) | instskip(NEXT) | instid1(SALU_CYCLE_1)
	s_or_b32 s0, s0, vcc_lo
	s_and_saveexec_b32 s5, s0
	s_delay_alu instid0(SALU_CYCLE_1)
	s_xor_b32 s0, exec_lo, s5
; %bb.90:
	v_min_i32_e32 v8, 15, v9
	s_delay_alu instid0(VALU_DEP_1) | instskip(NEXT) | instid1(VALU_DEP_1)
	v_lshl_or_b32 v8, v8, 3, v19
                                        ; implicit-def: $vgpr19
	v_and_or_b32 v18, v7, 7, v8
; %bb.91:
	s_and_not1_saveexec_b32 s0, s0
; %bb.92:
	v_mov_b32_e32 v18, v19
; %bb.93:
	s_or_b32 exec_lo, exec_lo, s0
.LBB1_94:
	s_delay_alu instid0(SALU_CYCLE_1)
	s_or_b32 exec_lo, exec_lo, s4
.LBB1_95:
	s_and_not1_saveexec_b32 s0, s3
	s_delay_alu instid0(SALU_CYCLE_1)
	s_or_b32 exec_lo, exec_lo, s0
                                        ; implicit-def: $vgpr10
                                        ; implicit-def: $vgpr7_vgpr8
.LBB1_96:
	s_and_not1_saveexec_b32 s0, s2
; %bb.97:
	v_cmp_eq_u64_e32 vcc_lo, 0, v[7:8]
	v_or_b32_e32 v9, 0x7f, v10
	s_delay_alu instid0(VALU_DEP_1)
	v_cndmask_b32_e32 v18, v9, v18, vcc_lo
; %bb.98:
	s_or_b32 exec_lo, exec_lo, s0
	v_dual_mul_f32 v7, v14, v30 :: v_dual_mov_b32 v8, 0
	s_mov_b32 s0, 0xc3e00000
	s_delay_alu instid0(VALU_DEP_1) | instid1(SALU_CYCLE_1)
	v_maxmin_f32 v9, v7, s0, 0x43e00000
	s_mov_b32 s0, exec_lo
	s_delay_alu instid0(VALU_DEP_2) | instskip(NEXT) | instid1(VALU_DEP_2)
	v_mov_b32_e32 v31, v8
	v_lshrrev_b32_e32 v10, 24, v9
	v_and_b32_e32 v30, 0x7f800000, v9
	v_and_b32_e32 v7, 0x7fffff, v9
	s_delay_alu instid0(VALU_DEP_3) | instskip(NEXT) | instid1(VALU_DEP_1)
	v_and_b32_e32 v20, 0x80, v10
	v_or_b32_e32 v19, 0x7e, v20
	s_delay_alu instid0(VALU_DEP_4)
	v_cmpx_ne_u64_e32 0x7f800000, v[30:31]
	s_xor_b32 s2, exec_lo, s0
	s_cbranch_execz .LBB1_114
; %bb.99:
	v_dual_mov_b32 v31, v8 :: v_dual_and_b32 v30, 0x7fffffff, v9
	s_mov_b32 s0, exec_lo
	s_delay_alu instid0(VALU_DEP_1)
	v_cmpx_gt_u64_e32 0x43e00001, v[30:31]
	s_xor_b32 s3, exec_lo, s0
	s_cbranch_execz .LBB1_113
; %bb.100:
	v_mov_b32_e32 v19, 0
	s_mov_b32 s4, exec_lo
	v_cmpx_ne_u32_e32 0, v9
	s_cbranch_execz .LBB1_112
; %bb.101:
	v_bfe_u32 v19, v9, 23, 8
	v_or_b32_e32 v31, 0x800000, v7
	s_delay_alu instid0(VALU_DEP_2) | instskip(SKIP_1) | instid1(VALU_DEP_2)
	v_sub_nc_u32_e32 v9, 0x79, v19
	v_cmp_gt_u32_e32 vcc_lo, 0x7a, v19
	v_cndmask_b32_e32 v9, 0, v9, vcc_lo
	v_cmp_eq_u32_e32 vcc_lo, 0, v19
	s_delay_alu instid0(VALU_DEP_2) | instskip(SKIP_1) | instid1(VALU_DEP_2)
	v_cndmask_b32_e64 v30, v9, 0x78, vcc_lo
	v_cndmask_b32_e32 v7, v31, v7, vcc_lo
	v_add_nc_u32_e32 v9, 20, v30
	v_add_nc_u32_e32 v31, 19, v30
	s_delay_alu instid0(VALU_DEP_2) | instskip(NEXT) | instid1(VALU_DEP_1)
	v_lshlrev_b64 v[9:10], v9, -1
	v_not_b32_e32 v33, v9
	s_delay_alu instid0(VALU_DEP_2) | instskip(NEXT) | instid1(VALU_DEP_4)
	v_not_b32_e32 v32, v10
	v_lshlrev_b64 v[9:10], v31, 1
	s_delay_alu instid0(VALU_DEP_3) | instskip(SKIP_1) | instid1(VALU_DEP_4)
	v_and_b32_e32 v31, v7, v33
	v_lshrrev_b64 v[7:8], v30, v[7:8]
	v_and_b32_e32 v32, 0, v32
	s_delay_alu instid0(VALU_DEP_1) | instskip(NEXT) | instid1(VALU_DEP_3)
	v_cmp_eq_u64_e64 s0, v[31:32], v[9:10]
	v_dual_mov_b32 v10, v8 :: v_dual_mov_b32 v9, v7
	s_delay_alu instid0(VALU_DEP_2)
	s_and_saveexec_b32 s5, s0
; %bb.102:
	v_bfe_u32 v9, v7, 20, 1
	s_delay_alu instid0(VALU_DEP_1) | instskip(NEXT) | instid1(VALU_DEP_1)
	v_add_co_u32 v9, s0, v7, v9
	v_add_co_u32 v9, s0, v9, -1
; %bb.103:
	s_or_b32 exec_lo, exec_lo, s5
	v_add_nc_u32_e32 v10, 0xffffff81, v19
	v_lshrrev_b32_e32 v19, 23, v7
	s_delay_alu instid0(VALU_DEP_3) | instskip(SKIP_1) | instid1(VALU_DEP_3)
	v_and_b32_e32 v9, 0xfffff, v9
	s_mov_b32 s0, exec_lo
	v_cndmask_b32_e64 v10, v10, 0xffffff82, vcc_lo
	s_delay_alu instid0(VALU_DEP_2) | instskip(SKIP_1) | instid1(VALU_DEP_3)
	v_add_co_u32 v7, vcc_lo, v9, v7
	v_add_co_ci_u32_e32 v8, vcc_lo, 0, v8, vcc_lo
	v_add3_u32 v10, v30, v10, v19
                                        ; implicit-def: $vgpr9
	s_delay_alu instid0(VALU_DEP_1) | instskip(NEXT) | instid1(VALU_DEP_1)
	v_add_nc_u32_e32 v19, 6, v10
	v_cmpx_ne_u32_e32 0, v19
	s_xor_b32 s0, exec_lo, s0
; %bb.104:
	v_cmp_lt_u64_e32 vcc_lo, 0xffffff, v[7:8]
	v_add_nc_u32_e32 v9, 7, v10
	v_cndmask_b32_e64 v10, 0, 1, vcc_lo
	s_delay_alu instid0(VALU_DEP_2) | instskip(NEXT) | instid1(VALU_DEP_2)
	v_cndmask_b32_e32 v9, v19, v9, vcc_lo
	v_lshrrev_b64 v[7:8], v10, v[7:8]
; %bb.105:
	s_and_not1_saveexec_b32 s0, s0
; %bb.106:
	s_delay_alu instid0(VALU_DEP_1)
	v_bfe_u32 v9, v7, 23, 1
; %bb.107:
	s_or_b32 exec_lo, exec_lo, s0
	s_delay_alu instid0(VALU_DEP_2) | instskip(NEXT) | instid1(VALU_DEP_2)
	v_lshrrev_b64 v[7:8], 20, v[7:8]
	v_cmp_gt_i32_e32 vcc_lo, 16, v9
	v_cmp_ne_u32_e64 s0, 0, v9
                                        ; implicit-def: $vgpr19
	s_delay_alu instid0(VALU_DEP_3) | instskip(NEXT) | instid1(VALU_DEP_1)
	v_dual_cndmask_b32 v8, 0, v8 :: v_dual_cndmask_b32 v7, 7, v7
	v_cmp_ne_u64_e32 vcc_lo, 0, v[7:8]
	s_delay_alu instid0(VALU_DEP_3) | instskip(NEXT) | instid1(SALU_CYCLE_1)
	s_or_b32 s0, s0, vcc_lo
	s_and_saveexec_b32 s5, s0
	s_delay_alu instid0(SALU_CYCLE_1)
	s_xor_b32 s0, exec_lo, s5
; %bb.108:
	v_min_i32_e32 v8, 15, v9
	s_delay_alu instid0(VALU_DEP_1) | instskip(NEXT) | instid1(VALU_DEP_1)
	v_lshl_or_b32 v8, v8, 3, v20
                                        ; implicit-def: $vgpr20
	v_and_or_b32 v19, v7, 7, v8
; %bb.109:
	s_and_not1_saveexec_b32 s0, s0
; %bb.110:
	v_mov_b32_e32 v19, v20
; %bb.111:
	s_or_b32 exec_lo, exec_lo, s0
.LBB1_112:
	s_delay_alu instid0(SALU_CYCLE_1)
	s_or_b32 exec_lo, exec_lo, s4
.LBB1_113:
	s_and_not1_saveexec_b32 s0, s3
	s_delay_alu instid0(SALU_CYCLE_1)
	s_or_b32 exec_lo, exec_lo, s0
                                        ; implicit-def: $vgpr10
                                        ; implicit-def: $vgpr7_vgpr8
.LBB1_114:
	s_and_not1_saveexec_b32 s0, s2
; %bb.115:
	v_cmp_eq_u64_e32 vcc_lo, 0, v[7:8]
	v_or_b32_e32 v9, 0x7f, v10
	s_delay_alu instid0(VALU_DEP_1)
	v_cndmask_b32_e32 v19, v9, v19, vcc_lo
; %bb.116:
	s_or_b32 exec_lo, exec_lo, s0
	v_dual_mul_f32 v7, v14, v29 :: v_dual_mov_b32 v8, 0
	s_mov_b32 s0, 0xc3e00000
	s_delay_alu instid0(VALU_DEP_1) | instid1(SALU_CYCLE_1)
	v_maxmin_f32 v9, v7, s0, 0x43e00000
	s_mov_b32 s0, exec_lo
	s_delay_alu instid0(VALU_DEP_2) | instskip(NEXT) | instid1(VALU_DEP_2)
	v_mov_b32_e32 v31, v8
	v_lshrrev_b32_e32 v10, 24, v9
	v_and_b32_e32 v30, 0x7f800000, v9
	v_and_b32_e32 v7, 0x7fffff, v9
	s_delay_alu instid0(VALU_DEP_3) | instskip(NEXT) | instid1(VALU_DEP_1)
	v_and_b32_e32 v29, 0x80, v10
	v_or_b32_e32 v20, 0x7e, v29
	s_delay_alu instid0(VALU_DEP_4)
	v_cmpx_ne_u64_e32 0x7f800000, v[30:31]
	s_xor_b32 s2, exec_lo, s0
	s_cbranch_execz .LBB1_132
; %bb.117:
	v_dual_mov_b32 v31, v8 :: v_dual_and_b32 v30, 0x7fffffff, v9
	s_mov_b32 s0, exec_lo
	s_delay_alu instid0(VALU_DEP_1)
	v_cmpx_gt_u64_e32 0x43e00001, v[30:31]
	s_xor_b32 s3, exec_lo, s0
	s_cbranch_execz .LBB1_131
; %bb.118:
	v_mov_b32_e32 v20, 0
	s_mov_b32 s4, exec_lo
	v_cmpx_ne_u32_e32 0, v9
	s_cbranch_execz .LBB1_130
; %bb.119:
	v_bfe_u32 v20, v9, 23, 8
	v_or_b32_e32 v31, 0x800000, v7
	s_delay_alu instid0(VALU_DEP_2) | instskip(SKIP_1) | instid1(VALU_DEP_2)
	v_sub_nc_u32_e32 v9, 0x79, v20
	v_cmp_gt_u32_e32 vcc_lo, 0x7a, v20
	v_cndmask_b32_e32 v9, 0, v9, vcc_lo
	v_cmp_eq_u32_e32 vcc_lo, 0, v20
	s_delay_alu instid0(VALU_DEP_2) | instskip(SKIP_1) | instid1(VALU_DEP_2)
	v_cndmask_b32_e64 v30, v9, 0x78, vcc_lo
	v_cndmask_b32_e32 v7, v31, v7, vcc_lo
	v_add_nc_u32_e32 v9, 20, v30
	v_add_nc_u32_e32 v31, 19, v30
	s_delay_alu instid0(VALU_DEP_2) | instskip(NEXT) | instid1(VALU_DEP_1)
	v_lshlrev_b64 v[9:10], v9, -1
	v_not_b32_e32 v33, v9
	s_delay_alu instid0(VALU_DEP_2) | instskip(NEXT) | instid1(VALU_DEP_4)
	v_not_b32_e32 v32, v10
	v_lshlrev_b64 v[9:10], v31, 1
	s_delay_alu instid0(VALU_DEP_3) | instskip(SKIP_1) | instid1(VALU_DEP_4)
	v_and_b32_e32 v31, v7, v33
	v_lshrrev_b64 v[7:8], v30, v[7:8]
	v_and_b32_e32 v32, 0, v32
	s_delay_alu instid0(VALU_DEP_1) | instskip(NEXT) | instid1(VALU_DEP_3)
	v_cmp_eq_u64_e64 s0, v[31:32], v[9:10]
	v_dual_mov_b32 v10, v8 :: v_dual_mov_b32 v9, v7
	s_delay_alu instid0(VALU_DEP_2)
	s_and_saveexec_b32 s5, s0
; %bb.120:
	v_bfe_u32 v9, v7, 20, 1
	s_delay_alu instid0(VALU_DEP_1) | instskip(NEXT) | instid1(VALU_DEP_1)
	v_add_co_u32 v9, s0, v7, v9
	v_add_co_u32 v9, s0, v9, -1
; %bb.121:
	s_or_b32 exec_lo, exec_lo, s5
	v_add_nc_u32_e32 v10, 0xffffff81, v20
	v_lshrrev_b32_e32 v20, 23, v7
	s_delay_alu instid0(VALU_DEP_3) | instskip(SKIP_1) | instid1(VALU_DEP_3)
	v_and_b32_e32 v9, 0xfffff, v9
	s_mov_b32 s0, exec_lo
	v_cndmask_b32_e64 v10, v10, 0xffffff82, vcc_lo
	s_delay_alu instid0(VALU_DEP_2) | instskip(SKIP_1) | instid1(VALU_DEP_3)
	v_add_co_u32 v7, vcc_lo, v9, v7
	v_add_co_ci_u32_e32 v8, vcc_lo, 0, v8, vcc_lo
	v_add3_u32 v10, v30, v10, v20
                                        ; implicit-def: $vgpr9
	s_delay_alu instid0(VALU_DEP_1) | instskip(NEXT) | instid1(VALU_DEP_1)
	v_add_nc_u32_e32 v20, 6, v10
	v_cmpx_ne_u32_e32 0, v20
	s_xor_b32 s0, exec_lo, s0
; %bb.122:
	v_cmp_lt_u64_e32 vcc_lo, 0xffffff, v[7:8]
	v_add_nc_u32_e32 v9, 7, v10
	v_cndmask_b32_e64 v10, 0, 1, vcc_lo
	s_delay_alu instid0(VALU_DEP_2) | instskip(NEXT) | instid1(VALU_DEP_2)
	v_cndmask_b32_e32 v9, v20, v9, vcc_lo
	v_lshrrev_b64 v[7:8], v10, v[7:8]
; %bb.123:
	s_and_not1_saveexec_b32 s0, s0
; %bb.124:
	s_delay_alu instid0(VALU_DEP_1)
	v_bfe_u32 v9, v7, 23, 1
; %bb.125:
	s_or_b32 exec_lo, exec_lo, s0
	s_delay_alu instid0(VALU_DEP_2) | instskip(NEXT) | instid1(VALU_DEP_2)
	v_lshrrev_b64 v[7:8], 20, v[7:8]
	v_cmp_gt_i32_e32 vcc_lo, 16, v9
	v_cmp_ne_u32_e64 s0, 0, v9
                                        ; implicit-def: $vgpr20
	s_delay_alu instid0(VALU_DEP_3) | instskip(NEXT) | instid1(VALU_DEP_1)
	v_dual_cndmask_b32 v8, 0, v8 :: v_dual_cndmask_b32 v7, 7, v7
	v_cmp_ne_u64_e32 vcc_lo, 0, v[7:8]
	s_delay_alu instid0(VALU_DEP_3) | instskip(NEXT) | instid1(SALU_CYCLE_1)
	s_or_b32 s0, s0, vcc_lo
	s_and_saveexec_b32 s5, s0
	s_delay_alu instid0(SALU_CYCLE_1)
	s_xor_b32 s0, exec_lo, s5
; %bb.126:
	v_min_i32_e32 v8, 15, v9
	s_delay_alu instid0(VALU_DEP_1) | instskip(NEXT) | instid1(VALU_DEP_1)
	v_lshl_or_b32 v8, v8, 3, v29
                                        ; implicit-def: $vgpr29
	v_and_or_b32 v20, v7, 7, v8
; %bb.127:
	s_and_not1_saveexec_b32 s0, s0
; %bb.128:
	v_mov_b32_e32 v20, v29
; %bb.129:
	s_or_b32 exec_lo, exec_lo, s0
.LBB1_130:
	s_delay_alu instid0(SALU_CYCLE_1)
	s_or_b32 exec_lo, exec_lo, s4
.LBB1_131:
	s_and_not1_saveexec_b32 s0, s3
	s_delay_alu instid0(SALU_CYCLE_1)
	s_or_b32 exec_lo, exec_lo, s0
                                        ; implicit-def: $vgpr10
                                        ; implicit-def: $vgpr7_vgpr8
.LBB1_132:
	s_and_not1_saveexec_b32 s0, s2
; %bb.133:
	v_cmp_eq_u64_e32 vcc_lo, 0, v[7:8]
	v_or_b32_e32 v9, 0x7f, v10
	s_delay_alu instid0(VALU_DEP_1)
	v_cndmask_b32_e32 v20, v9, v20, vcc_lo
; %bb.134:
	s_or_b32 exec_lo, exec_lo, s0
	v_dual_mul_f32 v7, v14, v25 :: v_dual_mov_b32 v8, 0
	s_mov_b32 s0, 0xc3e00000
	s_delay_alu instid0(VALU_DEP_1) | instid1(SALU_CYCLE_1)
	v_maxmin_f32 v9, v7, s0, 0x43e00000
	s_mov_b32 s0, exec_lo
	s_delay_alu instid0(VALU_DEP_2) | instskip(NEXT) | instid1(VALU_DEP_2)
	v_mov_b32_e32 v31, v8
	v_lshrrev_b32_e32 v10, 24, v9
	v_and_b32_e32 v30, 0x7f800000, v9
	v_and_b32_e32 v7, 0x7fffff, v9
	s_delay_alu instid0(VALU_DEP_3) | instskip(NEXT) | instid1(VALU_DEP_1)
	v_and_b32_e32 v29, 0x80, v10
	v_or_b32_e32 v25, 0x7e, v29
	s_delay_alu instid0(VALU_DEP_4)
	v_cmpx_ne_u64_e32 0x7f800000, v[30:31]
	s_xor_b32 s2, exec_lo, s0
	s_cbranch_execz .LBB1_150
; %bb.135:
	v_dual_mov_b32 v31, v8 :: v_dual_and_b32 v30, 0x7fffffff, v9
	s_mov_b32 s0, exec_lo
	s_delay_alu instid0(VALU_DEP_1)
	v_cmpx_gt_u64_e32 0x43e00001, v[30:31]
	s_xor_b32 s3, exec_lo, s0
	s_cbranch_execz .LBB1_149
; %bb.136:
	v_mov_b32_e32 v25, 0
	s_mov_b32 s4, exec_lo
	v_cmpx_ne_u32_e32 0, v9
	s_cbranch_execz .LBB1_148
; %bb.137:
	v_bfe_u32 v25, v9, 23, 8
	v_or_b32_e32 v31, 0x800000, v7
	s_delay_alu instid0(VALU_DEP_2) | instskip(SKIP_1) | instid1(VALU_DEP_2)
	v_sub_nc_u32_e32 v9, 0x79, v25
	v_cmp_gt_u32_e32 vcc_lo, 0x7a, v25
	v_cndmask_b32_e32 v9, 0, v9, vcc_lo
	v_cmp_eq_u32_e32 vcc_lo, 0, v25
	s_delay_alu instid0(VALU_DEP_2) | instskip(SKIP_1) | instid1(VALU_DEP_2)
	v_cndmask_b32_e64 v30, v9, 0x78, vcc_lo
	v_cndmask_b32_e32 v7, v31, v7, vcc_lo
	v_add_nc_u32_e32 v9, 20, v30
	v_add_nc_u32_e32 v31, 19, v30
	s_delay_alu instid0(VALU_DEP_2) | instskip(NEXT) | instid1(VALU_DEP_1)
	v_lshlrev_b64 v[9:10], v9, -1
	v_not_b32_e32 v33, v9
	s_delay_alu instid0(VALU_DEP_2) | instskip(NEXT) | instid1(VALU_DEP_4)
	v_not_b32_e32 v32, v10
	v_lshlrev_b64 v[9:10], v31, 1
	s_delay_alu instid0(VALU_DEP_3) | instskip(SKIP_1) | instid1(VALU_DEP_4)
	v_and_b32_e32 v31, v7, v33
	v_lshrrev_b64 v[7:8], v30, v[7:8]
	v_and_b32_e32 v32, 0, v32
	s_delay_alu instid0(VALU_DEP_1) | instskip(NEXT) | instid1(VALU_DEP_3)
	v_cmp_eq_u64_e64 s0, v[31:32], v[9:10]
	v_dual_mov_b32 v10, v8 :: v_dual_mov_b32 v9, v7
	s_delay_alu instid0(VALU_DEP_2)
	s_and_saveexec_b32 s5, s0
; %bb.138:
	v_bfe_u32 v9, v7, 20, 1
	s_delay_alu instid0(VALU_DEP_1) | instskip(NEXT) | instid1(VALU_DEP_1)
	v_add_co_u32 v9, s0, v7, v9
	v_add_co_u32 v9, s0, v9, -1
; %bb.139:
	s_or_b32 exec_lo, exec_lo, s5
	v_add_nc_u32_e32 v10, 0xffffff81, v25
	v_lshrrev_b32_e32 v25, 23, v7
	s_delay_alu instid0(VALU_DEP_3) | instskip(SKIP_1) | instid1(VALU_DEP_3)
	v_and_b32_e32 v9, 0xfffff, v9
	s_mov_b32 s0, exec_lo
	v_cndmask_b32_e64 v10, v10, 0xffffff82, vcc_lo
	s_delay_alu instid0(VALU_DEP_2) | instskip(SKIP_1) | instid1(VALU_DEP_3)
	v_add_co_u32 v7, vcc_lo, v9, v7
	v_add_co_ci_u32_e32 v8, vcc_lo, 0, v8, vcc_lo
	v_add3_u32 v10, v30, v10, v25
                                        ; implicit-def: $vgpr9
	s_delay_alu instid0(VALU_DEP_1) | instskip(NEXT) | instid1(VALU_DEP_1)
	v_add_nc_u32_e32 v25, 6, v10
	v_cmpx_ne_u32_e32 0, v25
	s_xor_b32 s0, exec_lo, s0
; %bb.140:
	v_cmp_lt_u64_e32 vcc_lo, 0xffffff, v[7:8]
	v_add_nc_u32_e32 v9, 7, v10
	v_cndmask_b32_e64 v10, 0, 1, vcc_lo
	s_delay_alu instid0(VALU_DEP_2) | instskip(NEXT) | instid1(VALU_DEP_2)
	v_cndmask_b32_e32 v9, v25, v9, vcc_lo
	v_lshrrev_b64 v[7:8], v10, v[7:8]
; %bb.141:
	s_and_not1_saveexec_b32 s0, s0
; %bb.142:
	s_delay_alu instid0(VALU_DEP_1)
	v_bfe_u32 v9, v7, 23, 1
; %bb.143:
	s_or_b32 exec_lo, exec_lo, s0
	s_delay_alu instid0(VALU_DEP_2) | instskip(NEXT) | instid1(VALU_DEP_2)
	v_lshrrev_b64 v[7:8], 20, v[7:8]
	v_cmp_gt_i32_e32 vcc_lo, 16, v9
	v_cmp_ne_u32_e64 s0, 0, v9
                                        ; implicit-def: $vgpr25
	s_delay_alu instid0(VALU_DEP_3) | instskip(NEXT) | instid1(VALU_DEP_1)
	v_dual_cndmask_b32 v8, 0, v8 :: v_dual_cndmask_b32 v7, 7, v7
	v_cmp_ne_u64_e32 vcc_lo, 0, v[7:8]
	s_delay_alu instid0(VALU_DEP_3) | instskip(NEXT) | instid1(SALU_CYCLE_1)
	s_or_b32 s0, s0, vcc_lo
	s_and_saveexec_b32 s5, s0
	s_delay_alu instid0(SALU_CYCLE_1)
	s_xor_b32 s0, exec_lo, s5
; %bb.144:
	v_min_i32_e32 v8, 15, v9
	s_delay_alu instid0(VALU_DEP_1) | instskip(NEXT) | instid1(VALU_DEP_1)
	v_lshl_or_b32 v8, v8, 3, v29
                                        ; implicit-def: $vgpr29
	v_and_or_b32 v25, v7, 7, v8
; %bb.145:
	s_and_not1_saveexec_b32 s0, s0
; %bb.146:
	v_mov_b32_e32 v25, v29
; %bb.147:
	s_or_b32 exec_lo, exec_lo, s0
.LBB1_148:
	s_delay_alu instid0(SALU_CYCLE_1)
	s_or_b32 exec_lo, exec_lo, s4
.LBB1_149:
	s_and_not1_saveexec_b32 s0, s3
	s_delay_alu instid0(SALU_CYCLE_1)
	s_or_b32 exec_lo, exec_lo, s0
                                        ; implicit-def: $vgpr10
                                        ; implicit-def: $vgpr7_vgpr8
.LBB1_150:
	s_and_not1_saveexec_b32 s0, s2
; %bb.151:
	v_cmp_eq_u64_e32 vcc_lo, 0, v[7:8]
	v_or_b32_e32 v9, 0x7f, v10
	s_delay_alu instid0(VALU_DEP_1)
	v_cndmask_b32_e32 v25, v9, v25, vcc_lo
; %bb.152:
	s_or_b32 exec_lo, exec_lo, s0
	v_dual_mul_f32 v7, v14, v27 :: v_dual_mov_b32 v8, 0
	s_mov_b32 s0, 0xc3e00000
	s_delay_alu instid0(VALU_DEP_1) | instid1(SALU_CYCLE_1)
	v_maxmin_f32 v9, v7, s0, 0x43e00000
	s_mov_b32 s0, exec_lo
	s_delay_alu instid0(VALU_DEP_2) | instskip(NEXT) | instid1(VALU_DEP_2)
	v_mov_b32_e32 v31, v8
	v_lshrrev_b32_e32 v10, 24, v9
	v_and_b32_e32 v30, 0x7f800000, v9
	v_and_b32_e32 v7, 0x7fffff, v9
	s_delay_alu instid0(VALU_DEP_3) | instskip(NEXT) | instid1(VALU_DEP_1)
	v_and_b32_e32 v29, 0x80, v10
	v_or_b32_e32 v27, 0x7e, v29
	s_delay_alu instid0(VALU_DEP_4)
	v_cmpx_ne_u64_e32 0x7f800000, v[30:31]
	s_xor_b32 s2, exec_lo, s0
	s_cbranch_execz .LBB1_168
; %bb.153:
	v_dual_mov_b32 v31, v8 :: v_dual_and_b32 v30, 0x7fffffff, v9
	s_mov_b32 s0, exec_lo
	s_delay_alu instid0(VALU_DEP_1)
	v_cmpx_gt_u64_e32 0x43e00001, v[30:31]
	s_xor_b32 s3, exec_lo, s0
	s_cbranch_execz .LBB1_167
; %bb.154:
	v_mov_b32_e32 v27, 0
	s_mov_b32 s4, exec_lo
	v_cmpx_ne_u32_e32 0, v9
	s_cbranch_execz .LBB1_166
; %bb.155:
	v_bfe_u32 v27, v9, 23, 8
	v_or_b32_e32 v31, 0x800000, v7
	s_delay_alu instid0(VALU_DEP_2) | instskip(SKIP_1) | instid1(VALU_DEP_2)
	v_sub_nc_u32_e32 v9, 0x79, v27
	v_cmp_gt_u32_e32 vcc_lo, 0x7a, v27
	v_cndmask_b32_e32 v9, 0, v9, vcc_lo
	v_cmp_eq_u32_e32 vcc_lo, 0, v27
	s_delay_alu instid0(VALU_DEP_2) | instskip(SKIP_1) | instid1(VALU_DEP_2)
	v_cndmask_b32_e64 v30, v9, 0x78, vcc_lo
	v_cndmask_b32_e32 v7, v31, v7, vcc_lo
	v_add_nc_u32_e32 v9, 20, v30
	v_add_nc_u32_e32 v31, 19, v30
	s_delay_alu instid0(VALU_DEP_2) | instskip(NEXT) | instid1(VALU_DEP_1)
	v_lshlrev_b64 v[9:10], v9, -1
	v_not_b32_e32 v33, v9
	s_delay_alu instid0(VALU_DEP_2) | instskip(NEXT) | instid1(VALU_DEP_4)
	v_not_b32_e32 v32, v10
	v_lshlrev_b64 v[9:10], v31, 1
	s_delay_alu instid0(VALU_DEP_3) | instskip(SKIP_1) | instid1(VALU_DEP_4)
	v_and_b32_e32 v31, v7, v33
	v_lshrrev_b64 v[7:8], v30, v[7:8]
	v_and_b32_e32 v32, 0, v32
	s_delay_alu instid0(VALU_DEP_1) | instskip(NEXT) | instid1(VALU_DEP_3)
	v_cmp_eq_u64_e64 s0, v[31:32], v[9:10]
	v_dual_mov_b32 v10, v8 :: v_dual_mov_b32 v9, v7
	s_delay_alu instid0(VALU_DEP_2)
	s_and_saveexec_b32 s5, s0
; %bb.156:
	v_bfe_u32 v9, v7, 20, 1
	s_delay_alu instid0(VALU_DEP_1) | instskip(NEXT) | instid1(VALU_DEP_1)
	v_add_co_u32 v9, s0, v7, v9
	v_add_co_u32 v9, s0, v9, -1
; %bb.157:
	s_or_b32 exec_lo, exec_lo, s5
	v_add_nc_u32_e32 v10, 0xffffff81, v27
	v_lshrrev_b32_e32 v27, 23, v7
	s_delay_alu instid0(VALU_DEP_3) | instskip(SKIP_1) | instid1(VALU_DEP_3)
	v_and_b32_e32 v9, 0xfffff, v9
	s_mov_b32 s0, exec_lo
	v_cndmask_b32_e64 v10, v10, 0xffffff82, vcc_lo
	s_delay_alu instid0(VALU_DEP_2) | instskip(SKIP_1) | instid1(VALU_DEP_3)
	v_add_co_u32 v7, vcc_lo, v9, v7
	v_add_co_ci_u32_e32 v8, vcc_lo, 0, v8, vcc_lo
	v_add3_u32 v10, v30, v10, v27
                                        ; implicit-def: $vgpr9
	s_delay_alu instid0(VALU_DEP_1) | instskip(NEXT) | instid1(VALU_DEP_1)
	v_add_nc_u32_e32 v27, 6, v10
	v_cmpx_ne_u32_e32 0, v27
	s_xor_b32 s0, exec_lo, s0
; %bb.158:
	v_cmp_lt_u64_e32 vcc_lo, 0xffffff, v[7:8]
	v_add_nc_u32_e32 v9, 7, v10
	v_cndmask_b32_e64 v10, 0, 1, vcc_lo
	s_delay_alu instid0(VALU_DEP_2) | instskip(NEXT) | instid1(VALU_DEP_2)
	v_cndmask_b32_e32 v9, v27, v9, vcc_lo
	v_lshrrev_b64 v[7:8], v10, v[7:8]
; %bb.159:
	s_and_not1_saveexec_b32 s0, s0
; %bb.160:
	s_delay_alu instid0(VALU_DEP_1)
	v_bfe_u32 v9, v7, 23, 1
; %bb.161:
	s_or_b32 exec_lo, exec_lo, s0
	s_delay_alu instid0(VALU_DEP_2) | instskip(NEXT) | instid1(VALU_DEP_2)
	v_lshrrev_b64 v[7:8], 20, v[7:8]
	v_cmp_gt_i32_e32 vcc_lo, 16, v9
	v_cmp_ne_u32_e64 s0, 0, v9
                                        ; implicit-def: $vgpr27
	s_delay_alu instid0(VALU_DEP_3) | instskip(NEXT) | instid1(VALU_DEP_1)
	v_dual_cndmask_b32 v8, 0, v8 :: v_dual_cndmask_b32 v7, 7, v7
	v_cmp_ne_u64_e32 vcc_lo, 0, v[7:8]
	s_delay_alu instid0(VALU_DEP_3) | instskip(NEXT) | instid1(SALU_CYCLE_1)
	s_or_b32 s0, s0, vcc_lo
	s_and_saveexec_b32 s5, s0
	s_delay_alu instid0(SALU_CYCLE_1)
	s_xor_b32 s0, exec_lo, s5
; %bb.162:
	v_min_i32_e32 v8, 15, v9
	s_delay_alu instid0(VALU_DEP_1) | instskip(NEXT) | instid1(VALU_DEP_1)
	v_lshl_or_b32 v8, v8, 3, v29
                                        ; implicit-def: $vgpr29
	v_and_or_b32 v27, v7, 7, v8
; %bb.163:
	s_and_not1_saveexec_b32 s0, s0
; %bb.164:
	v_mov_b32_e32 v27, v29
; %bb.165:
	s_or_b32 exec_lo, exec_lo, s0
.LBB1_166:
	s_delay_alu instid0(SALU_CYCLE_1)
	s_or_b32 exec_lo, exec_lo, s4
.LBB1_167:
	s_and_not1_saveexec_b32 s0, s3
	s_delay_alu instid0(SALU_CYCLE_1)
	s_or_b32 exec_lo, exec_lo, s0
                                        ; implicit-def: $vgpr10
                                        ; implicit-def: $vgpr7_vgpr8
.LBB1_168:
	s_and_not1_saveexec_b32 s0, s2
; %bb.169:
	v_cmp_eq_u64_e32 vcc_lo, 0, v[7:8]
	v_or_b32_e32 v9, 0x7f, v10
	s_delay_alu instid0(VALU_DEP_1)
	v_cndmask_b32_e32 v27, v9, v27, vcc_lo
; %bb.170:
	s_or_b32 exec_lo, exec_lo, s0
	v_dual_mul_f32 v7, v14, v28 :: v_dual_mov_b32 v8, 0
	s_mov_b32 s0, 0xc3e00000
	s_delay_alu instid0(VALU_DEP_1) | instid1(SALU_CYCLE_1)
	v_maxmin_f32 v9, v7, s0, 0x43e00000
	s_mov_b32 s0, exec_lo
	s_delay_alu instid0(VALU_DEP_2) | instskip(NEXT) | instid1(VALU_DEP_2)
	v_mov_b32_e32 v31, v8
	v_lshrrev_b32_e32 v10, 24, v9
	v_and_b32_e32 v30, 0x7f800000, v9
	v_and_b32_e32 v7, 0x7fffff, v9
	s_delay_alu instid0(VALU_DEP_3) | instskip(NEXT) | instid1(VALU_DEP_1)
	v_and_b32_e32 v29, 0x80, v10
	v_or_b32_e32 v28, 0x7e, v29
	s_delay_alu instid0(VALU_DEP_4)
	v_cmpx_ne_u64_e32 0x7f800000, v[30:31]
	s_xor_b32 s2, exec_lo, s0
	s_cbranch_execz .LBB1_186
; %bb.171:
	v_dual_mov_b32 v31, v8 :: v_dual_and_b32 v30, 0x7fffffff, v9
	s_mov_b32 s0, exec_lo
	s_delay_alu instid0(VALU_DEP_1)
	v_cmpx_gt_u64_e32 0x43e00001, v[30:31]
	s_xor_b32 s3, exec_lo, s0
	s_cbranch_execz .LBB1_185
; %bb.172:
	v_mov_b32_e32 v28, 0
	s_mov_b32 s4, exec_lo
	v_cmpx_ne_u32_e32 0, v9
	s_cbranch_execz .LBB1_184
; %bb.173:
	v_bfe_u32 v28, v9, 23, 8
	v_or_b32_e32 v31, 0x800000, v7
	s_delay_alu instid0(VALU_DEP_2) | instskip(SKIP_1) | instid1(VALU_DEP_2)
	v_sub_nc_u32_e32 v9, 0x79, v28
	v_cmp_gt_u32_e32 vcc_lo, 0x7a, v28
	v_cndmask_b32_e32 v9, 0, v9, vcc_lo
	v_cmp_eq_u32_e32 vcc_lo, 0, v28
	s_delay_alu instid0(VALU_DEP_2) | instskip(SKIP_1) | instid1(VALU_DEP_2)
	v_cndmask_b32_e64 v30, v9, 0x78, vcc_lo
	v_cndmask_b32_e32 v7, v31, v7, vcc_lo
	v_add_nc_u32_e32 v9, 20, v30
	v_add_nc_u32_e32 v31, 19, v30
	s_delay_alu instid0(VALU_DEP_2) | instskip(NEXT) | instid1(VALU_DEP_1)
	v_lshlrev_b64 v[9:10], v9, -1
	v_not_b32_e32 v33, v9
	s_delay_alu instid0(VALU_DEP_2) | instskip(NEXT) | instid1(VALU_DEP_4)
	v_not_b32_e32 v32, v10
	v_lshlrev_b64 v[9:10], v31, 1
	s_delay_alu instid0(VALU_DEP_3) | instskip(SKIP_1) | instid1(VALU_DEP_4)
	v_and_b32_e32 v31, v7, v33
	v_lshrrev_b64 v[7:8], v30, v[7:8]
	v_and_b32_e32 v32, 0, v32
	s_delay_alu instid0(VALU_DEP_1) | instskip(NEXT) | instid1(VALU_DEP_3)
	v_cmp_eq_u64_e64 s0, v[31:32], v[9:10]
	v_dual_mov_b32 v10, v8 :: v_dual_mov_b32 v9, v7
	s_delay_alu instid0(VALU_DEP_2)
	s_and_saveexec_b32 s5, s0
; %bb.174:
	v_bfe_u32 v9, v7, 20, 1
	s_delay_alu instid0(VALU_DEP_1) | instskip(NEXT) | instid1(VALU_DEP_1)
	v_add_co_u32 v9, s0, v7, v9
	v_add_co_u32 v9, s0, v9, -1
; %bb.175:
	s_or_b32 exec_lo, exec_lo, s5
	v_add_nc_u32_e32 v10, 0xffffff81, v28
	v_lshrrev_b32_e32 v28, 23, v7
	s_delay_alu instid0(VALU_DEP_3) | instskip(SKIP_1) | instid1(VALU_DEP_3)
	v_and_b32_e32 v9, 0xfffff, v9
	s_mov_b32 s0, exec_lo
	v_cndmask_b32_e64 v10, v10, 0xffffff82, vcc_lo
	s_delay_alu instid0(VALU_DEP_2) | instskip(SKIP_1) | instid1(VALU_DEP_3)
	v_add_co_u32 v7, vcc_lo, v9, v7
	v_add_co_ci_u32_e32 v8, vcc_lo, 0, v8, vcc_lo
	v_add3_u32 v10, v30, v10, v28
                                        ; implicit-def: $vgpr9
	s_delay_alu instid0(VALU_DEP_1) | instskip(NEXT) | instid1(VALU_DEP_1)
	v_add_nc_u32_e32 v28, 6, v10
	v_cmpx_ne_u32_e32 0, v28
	s_xor_b32 s0, exec_lo, s0
; %bb.176:
	v_cmp_lt_u64_e32 vcc_lo, 0xffffff, v[7:8]
	v_add_nc_u32_e32 v9, 7, v10
	v_cndmask_b32_e64 v10, 0, 1, vcc_lo
	s_delay_alu instid0(VALU_DEP_2) | instskip(NEXT) | instid1(VALU_DEP_2)
	v_cndmask_b32_e32 v9, v28, v9, vcc_lo
	v_lshrrev_b64 v[7:8], v10, v[7:8]
; %bb.177:
	s_and_not1_saveexec_b32 s0, s0
; %bb.178:
	s_delay_alu instid0(VALU_DEP_1)
	v_bfe_u32 v9, v7, 23, 1
; %bb.179:
	s_or_b32 exec_lo, exec_lo, s0
	s_delay_alu instid0(VALU_DEP_2) | instskip(NEXT) | instid1(VALU_DEP_2)
	v_lshrrev_b64 v[7:8], 20, v[7:8]
	v_cmp_gt_i32_e32 vcc_lo, 16, v9
	v_cmp_ne_u32_e64 s0, 0, v9
                                        ; implicit-def: $vgpr28
	s_delay_alu instid0(VALU_DEP_3) | instskip(NEXT) | instid1(VALU_DEP_1)
	v_dual_cndmask_b32 v8, 0, v8 :: v_dual_cndmask_b32 v7, 7, v7
	v_cmp_ne_u64_e32 vcc_lo, 0, v[7:8]
	s_delay_alu instid0(VALU_DEP_3) | instskip(NEXT) | instid1(SALU_CYCLE_1)
	s_or_b32 s0, s0, vcc_lo
	s_and_saveexec_b32 s5, s0
	s_delay_alu instid0(SALU_CYCLE_1)
	s_xor_b32 s0, exec_lo, s5
; %bb.180:
	v_min_i32_e32 v8, 15, v9
	s_delay_alu instid0(VALU_DEP_1) | instskip(NEXT) | instid1(VALU_DEP_1)
	v_lshl_or_b32 v8, v8, 3, v29
                                        ; implicit-def: $vgpr29
	v_and_or_b32 v28, v7, 7, v8
; %bb.181:
	s_and_not1_saveexec_b32 s0, s0
; %bb.182:
	v_mov_b32_e32 v28, v29
; %bb.183:
	s_or_b32 exec_lo, exec_lo, s0
.LBB1_184:
	s_delay_alu instid0(SALU_CYCLE_1)
	s_or_b32 exec_lo, exec_lo, s4
.LBB1_185:
	s_and_not1_saveexec_b32 s0, s3
	s_delay_alu instid0(SALU_CYCLE_1)
	s_or_b32 exec_lo, exec_lo, s0
                                        ; implicit-def: $vgpr10
                                        ; implicit-def: $vgpr7_vgpr8
.LBB1_186:
	s_and_not1_saveexec_b32 s0, s2
; %bb.187:
	v_cmp_eq_u64_e32 vcc_lo, 0, v[7:8]
	v_or_b32_e32 v9, 0x7f, v10
	s_delay_alu instid0(VALU_DEP_1)
	v_cndmask_b32_e32 v28, v9, v28, vcc_lo
; %bb.188:
	s_or_b32 exec_lo, exec_lo, s0
	v_dual_mul_f32 v7, v14, v26 :: v_dual_mov_b32 v8, 0
	s_mov_b32 s0, 0xc3e00000
	s_delay_alu instid0(VALU_DEP_1) | instid1(SALU_CYCLE_1)
	v_maxmin_f32 v9, v7, s0, 0x43e00000
	s_mov_b32 s0, exec_lo
	s_delay_alu instid0(VALU_DEP_2) | instskip(NEXT) | instid1(VALU_DEP_2)
	v_mov_b32_e32 v31, v8
	v_lshrrev_b32_e32 v10, 24, v9
	v_and_b32_e32 v30, 0x7f800000, v9
	v_and_b32_e32 v7, 0x7fffff, v9
	s_delay_alu instid0(VALU_DEP_3) | instskip(NEXT) | instid1(VALU_DEP_1)
	v_and_b32_e32 v29, 0x80, v10
	v_or_b32_e32 v26, 0x7e, v29
	s_delay_alu instid0(VALU_DEP_4)
	v_cmpx_ne_u64_e32 0x7f800000, v[30:31]
	s_xor_b32 s2, exec_lo, s0
	s_cbranch_execz .LBB1_204
; %bb.189:
	v_dual_mov_b32 v31, v8 :: v_dual_and_b32 v30, 0x7fffffff, v9
	s_mov_b32 s0, exec_lo
	s_delay_alu instid0(VALU_DEP_1)
	v_cmpx_gt_u64_e32 0x43e00001, v[30:31]
	s_xor_b32 s3, exec_lo, s0
	s_cbranch_execz .LBB1_203
; %bb.190:
	v_mov_b32_e32 v26, 0
	s_mov_b32 s4, exec_lo
	v_cmpx_ne_u32_e32 0, v9
	s_cbranch_execz .LBB1_202
; %bb.191:
	v_bfe_u32 v26, v9, 23, 8
	v_or_b32_e32 v31, 0x800000, v7
	s_delay_alu instid0(VALU_DEP_2) | instskip(SKIP_1) | instid1(VALU_DEP_2)
	v_sub_nc_u32_e32 v9, 0x79, v26
	v_cmp_gt_u32_e32 vcc_lo, 0x7a, v26
	v_cndmask_b32_e32 v9, 0, v9, vcc_lo
	v_cmp_eq_u32_e32 vcc_lo, 0, v26
	s_delay_alu instid0(VALU_DEP_2) | instskip(SKIP_1) | instid1(VALU_DEP_2)
	v_cndmask_b32_e64 v30, v9, 0x78, vcc_lo
	v_cndmask_b32_e32 v7, v31, v7, vcc_lo
	v_add_nc_u32_e32 v9, 20, v30
	v_add_nc_u32_e32 v31, 19, v30
	s_delay_alu instid0(VALU_DEP_2) | instskip(NEXT) | instid1(VALU_DEP_1)
	v_lshlrev_b64 v[9:10], v9, -1
	v_not_b32_e32 v33, v9
	s_delay_alu instid0(VALU_DEP_2) | instskip(NEXT) | instid1(VALU_DEP_4)
	v_not_b32_e32 v32, v10
	v_lshlrev_b64 v[9:10], v31, 1
	s_delay_alu instid0(VALU_DEP_3) | instskip(SKIP_1) | instid1(VALU_DEP_4)
	v_and_b32_e32 v31, v7, v33
	v_lshrrev_b64 v[7:8], v30, v[7:8]
	v_and_b32_e32 v32, 0, v32
	s_delay_alu instid0(VALU_DEP_1) | instskip(NEXT) | instid1(VALU_DEP_3)
	v_cmp_eq_u64_e64 s0, v[31:32], v[9:10]
	v_dual_mov_b32 v10, v8 :: v_dual_mov_b32 v9, v7
	s_delay_alu instid0(VALU_DEP_2)
	s_and_saveexec_b32 s5, s0
; %bb.192:
	v_bfe_u32 v9, v7, 20, 1
	s_delay_alu instid0(VALU_DEP_1) | instskip(NEXT) | instid1(VALU_DEP_1)
	v_add_co_u32 v9, s0, v7, v9
	v_add_co_u32 v9, s0, v9, -1
; %bb.193:
	s_or_b32 exec_lo, exec_lo, s5
	v_add_nc_u32_e32 v10, 0xffffff81, v26
	v_lshrrev_b32_e32 v26, 23, v7
	s_delay_alu instid0(VALU_DEP_3) | instskip(SKIP_1) | instid1(VALU_DEP_3)
	v_and_b32_e32 v9, 0xfffff, v9
	s_mov_b32 s0, exec_lo
	v_cndmask_b32_e64 v10, v10, 0xffffff82, vcc_lo
	s_delay_alu instid0(VALU_DEP_2) | instskip(SKIP_1) | instid1(VALU_DEP_3)
	v_add_co_u32 v7, vcc_lo, v9, v7
	v_add_co_ci_u32_e32 v8, vcc_lo, 0, v8, vcc_lo
	v_add3_u32 v10, v30, v10, v26
                                        ; implicit-def: $vgpr9
	s_delay_alu instid0(VALU_DEP_1) | instskip(NEXT) | instid1(VALU_DEP_1)
	v_add_nc_u32_e32 v26, 6, v10
	v_cmpx_ne_u32_e32 0, v26
	s_xor_b32 s0, exec_lo, s0
; %bb.194:
	v_cmp_lt_u64_e32 vcc_lo, 0xffffff, v[7:8]
	v_add_nc_u32_e32 v9, 7, v10
	v_cndmask_b32_e64 v10, 0, 1, vcc_lo
	s_delay_alu instid0(VALU_DEP_2) | instskip(NEXT) | instid1(VALU_DEP_2)
	v_cndmask_b32_e32 v9, v26, v9, vcc_lo
	v_lshrrev_b64 v[7:8], v10, v[7:8]
; %bb.195:
	s_and_not1_saveexec_b32 s0, s0
; %bb.196:
	s_delay_alu instid0(VALU_DEP_1)
	v_bfe_u32 v9, v7, 23, 1
; %bb.197:
	s_or_b32 exec_lo, exec_lo, s0
	s_delay_alu instid0(VALU_DEP_2) | instskip(NEXT) | instid1(VALU_DEP_2)
	v_lshrrev_b64 v[7:8], 20, v[7:8]
	v_cmp_gt_i32_e32 vcc_lo, 16, v9
	v_cmp_ne_u32_e64 s0, 0, v9
                                        ; implicit-def: $vgpr26
	s_delay_alu instid0(VALU_DEP_3) | instskip(NEXT) | instid1(VALU_DEP_1)
	v_dual_cndmask_b32 v8, 0, v8 :: v_dual_cndmask_b32 v7, 7, v7
	v_cmp_ne_u64_e32 vcc_lo, 0, v[7:8]
	s_delay_alu instid0(VALU_DEP_3) | instskip(NEXT) | instid1(SALU_CYCLE_1)
	s_or_b32 s0, s0, vcc_lo
	s_and_saveexec_b32 s5, s0
	s_delay_alu instid0(SALU_CYCLE_1)
	s_xor_b32 s0, exec_lo, s5
; %bb.198:
	v_min_i32_e32 v8, 15, v9
	s_delay_alu instid0(VALU_DEP_1) | instskip(NEXT) | instid1(VALU_DEP_1)
	v_lshl_or_b32 v8, v8, 3, v29
                                        ; implicit-def: $vgpr29
	v_and_or_b32 v26, v7, 7, v8
; %bb.199:
	s_and_not1_saveexec_b32 s0, s0
; %bb.200:
	v_mov_b32_e32 v26, v29
; %bb.201:
	s_or_b32 exec_lo, exec_lo, s0
.LBB1_202:
	s_delay_alu instid0(SALU_CYCLE_1)
	s_or_b32 exec_lo, exec_lo, s4
.LBB1_203:
	s_and_not1_saveexec_b32 s0, s3
	s_delay_alu instid0(SALU_CYCLE_1)
	s_or_b32 exec_lo, exec_lo, s0
                                        ; implicit-def: $vgpr10
                                        ; implicit-def: $vgpr7_vgpr8
.LBB1_204:
	s_and_not1_saveexec_b32 s0, s2
; %bb.205:
	v_cmp_eq_u64_e32 vcc_lo, 0, v[7:8]
	v_or_b32_e32 v9, 0x7f, v10
	s_delay_alu instid0(VALU_DEP_1)
	v_cndmask_b32_e32 v26, v9, v26, vcc_lo
; %bb.206:
	s_or_b32 exec_lo, exec_lo, s0
	v_dual_mul_f32 v7, v14, v24 :: v_dual_mov_b32 v8, 0
	s_mov_b32 s0, 0xc3e00000
	s_delay_alu instid0(VALU_DEP_1) | instid1(SALU_CYCLE_1)
	v_maxmin_f32 v9, v7, s0, 0x43e00000
	s_mov_b32 s0, exec_lo
	s_delay_alu instid0(VALU_DEP_2) | instskip(NEXT) | instid1(VALU_DEP_2)
	v_mov_b32_e32 v31, v8
	v_lshrrev_b32_e32 v10, 24, v9
	v_and_b32_e32 v30, 0x7f800000, v9
	v_and_b32_e32 v7, 0x7fffff, v9
	s_delay_alu instid0(VALU_DEP_3) | instskip(NEXT) | instid1(VALU_DEP_1)
	v_and_b32_e32 v29, 0x80, v10
	v_or_b32_e32 v24, 0x7e, v29
	s_delay_alu instid0(VALU_DEP_4)
	v_cmpx_ne_u64_e32 0x7f800000, v[30:31]
	s_xor_b32 s2, exec_lo, s0
	s_cbranch_execz .LBB1_222
; %bb.207:
	v_dual_mov_b32 v31, v8 :: v_dual_and_b32 v30, 0x7fffffff, v9
	s_mov_b32 s0, exec_lo
	s_delay_alu instid0(VALU_DEP_1)
	v_cmpx_gt_u64_e32 0x43e00001, v[30:31]
	s_xor_b32 s3, exec_lo, s0
	s_cbranch_execz .LBB1_221
; %bb.208:
	v_mov_b32_e32 v24, 0
	s_mov_b32 s4, exec_lo
	v_cmpx_ne_u32_e32 0, v9
	s_cbranch_execz .LBB1_220
; %bb.209:
	v_bfe_u32 v24, v9, 23, 8
	v_or_b32_e32 v31, 0x800000, v7
	s_delay_alu instid0(VALU_DEP_2) | instskip(SKIP_1) | instid1(VALU_DEP_2)
	v_sub_nc_u32_e32 v9, 0x79, v24
	v_cmp_gt_u32_e32 vcc_lo, 0x7a, v24
	v_cndmask_b32_e32 v9, 0, v9, vcc_lo
	v_cmp_eq_u32_e32 vcc_lo, 0, v24
	s_delay_alu instid0(VALU_DEP_2) | instskip(SKIP_1) | instid1(VALU_DEP_2)
	v_cndmask_b32_e64 v30, v9, 0x78, vcc_lo
	v_cndmask_b32_e32 v7, v31, v7, vcc_lo
	v_add_nc_u32_e32 v9, 20, v30
	v_add_nc_u32_e32 v31, 19, v30
	s_delay_alu instid0(VALU_DEP_2) | instskip(NEXT) | instid1(VALU_DEP_1)
	v_lshlrev_b64 v[9:10], v9, -1
	v_not_b32_e32 v33, v9
	s_delay_alu instid0(VALU_DEP_2) | instskip(NEXT) | instid1(VALU_DEP_4)
	v_not_b32_e32 v32, v10
	v_lshlrev_b64 v[9:10], v31, 1
	s_delay_alu instid0(VALU_DEP_3) | instskip(SKIP_1) | instid1(VALU_DEP_4)
	v_and_b32_e32 v31, v7, v33
	v_lshrrev_b64 v[7:8], v30, v[7:8]
	v_and_b32_e32 v32, 0, v32
	s_delay_alu instid0(VALU_DEP_1) | instskip(NEXT) | instid1(VALU_DEP_3)
	v_cmp_eq_u64_e64 s0, v[31:32], v[9:10]
	v_dual_mov_b32 v10, v8 :: v_dual_mov_b32 v9, v7
	s_delay_alu instid0(VALU_DEP_2)
	s_and_saveexec_b32 s5, s0
; %bb.210:
	v_bfe_u32 v9, v7, 20, 1
	s_delay_alu instid0(VALU_DEP_1) | instskip(NEXT) | instid1(VALU_DEP_1)
	v_add_co_u32 v9, s0, v7, v9
	v_add_co_u32 v9, s0, v9, -1
; %bb.211:
	s_or_b32 exec_lo, exec_lo, s5
	v_add_nc_u32_e32 v10, 0xffffff81, v24
	v_lshrrev_b32_e32 v24, 23, v7
	s_delay_alu instid0(VALU_DEP_3) | instskip(SKIP_1) | instid1(VALU_DEP_3)
	v_and_b32_e32 v9, 0xfffff, v9
	s_mov_b32 s0, exec_lo
	v_cndmask_b32_e64 v10, v10, 0xffffff82, vcc_lo
	s_delay_alu instid0(VALU_DEP_2) | instskip(SKIP_1) | instid1(VALU_DEP_3)
	v_add_co_u32 v7, vcc_lo, v9, v7
	v_add_co_ci_u32_e32 v8, vcc_lo, 0, v8, vcc_lo
	v_add3_u32 v10, v30, v10, v24
                                        ; implicit-def: $vgpr9
	s_delay_alu instid0(VALU_DEP_1) | instskip(NEXT) | instid1(VALU_DEP_1)
	v_add_nc_u32_e32 v24, 6, v10
	v_cmpx_ne_u32_e32 0, v24
	s_xor_b32 s0, exec_lo, s0
; %bb.212:
	v_cmp_lt_u64_e32 vcc_lo, 0xffffff, v[7:8]
	v_add_nc_u32_e32 v9, 7, v10
	v_cndmask_b32_e64 v10, 0, 1, vcc_lo
	s_delay_alu instid0(VALU_DEP_2) | instskip(NEXT) | instid1(VALU_DEP_2)
	v_cndmask_b32_e32 v9, v24, v9, vcc_lo
	v_lshrrev_b64 v[7:8], v10, v[7:8]
; %bb.213:
	s_and_not1_saveexec_b32 s0, s0
; %bb.214:
	s_delay_alu instid0(VALU_DEP_1)
	v_bfe_u32 v9, v7, 23, 1
; %bb.215:
	s_or_b32 exec_lo, exec_lo, s0
	s_delay_alu instid0(VALU_DEP_2) | instskip(NEXT) | instid1(VALU_DEP_2)
	v_lshrrev_b64 v[7:8], 20, v[7:8]
	v_cmp_gt_i32_e32 vcc_lo, 16, v9
	v_cmp_ne_u32_e64 s0, 0, v9
                                        ; implicit-def: $vgpr24
	s_delay_alu instid0(VALU_DEP_3) | instskip(NEXT) | instid1(VALU_DEP_1)
	v_dual_cndmask_b32 v8, 0, v8 :: v_dual_cndmask_b32 v7, 7, v7
	v_cmp_ne_u64_e32 vcc_lo, 0, v[7:8]
	s_delay_alu instid0(VALU_DEP_3) | instskip(NEXT) | instid1(SALU_CYCLE_1)
	s_or_b32 s0, s0, vcc_lo
	s_and_saveexec_b32 s5, s0
	s_delay_alu instid0(SALU_CYCLE_1)
	s_xor_b32 s0, exec_lo, s5
; %bb.216:
	v_min_i32_e32 v8, 15, v9
	s_delay_alu instid0(VALU_DEP_1) | instskip(NEXT) | instid1(VALU_DEP_1)
	v_lshl_or_b32 v8, v8, 3, v29
                                        ; implicit-def: $vgpr29
	v_and_or_b32 v24, v7, 7, v8
; %bb.217:
	s_and_not1_saveexec_b32 s0, s0
; %bb.218:
	v_mov_b32_e32 v24, v29
; %bb.219:
	s_or_b32 exec_lo, exec_lo, s0
.LBB1_220:
	s_delay_alu instid0(SALU_CYCLE_1)
	s_or_b32 exec_lo, exec_lo, s4
.LBB1_221:
	s_and_not1_saveexec_b32 s0, s3
	s_delay_alu instid0(SALU_CYCLE_1)
	s_or_b32 exec_lo, exec_lo, s0
                                        ; implicit-def: $vgpr10
                                        ; implicit-def: $vgpr7_vgpr8
.LBB1_222:
	s_and_not1_saveexec_b32 s0, s2
; %bb.223:
	v_cmp_eq_u64_e32 vcc_lo, 0, v[7:8]
	v_or_b32_e32 v9, 0x7f, v10
	s_delay_alu instid0(VALU_DEP_1)
	v_cndmask_b32_e32 v24, v9, v24, vcc_lo
; %bb.224:
	s_or_b32 exec_lo, exec_lo, s0
	v_dual_mul_f32 v7, v14, v23 :: v_dual_mov_b32 v8, 0
	s_mov_b32 s0, 0xc3e00000
	s_delay_alu instid0(VALU_DEP_1) | instid1(SALU_CYCLE_1)
	v_maxmin_f32 v9, v7, s0, 0x43e00000
	s_mov_b32 s0, exec_lo
	s_delay_alu instid0(VALU_DEP_2) | instskip(NEXT) | instid1(VALU_DEP_2)
	v_mov_b32_e32 v31, v8
	v_lshrrev_b32_e32 v10, 24, v9
	v_and_b32_e32 v30, 0x7f800000, v9
	v_and_b32_e32 v7, 0x7fffff, v9
	s_delay_alu instid0(VALU_DEP_3) | instskip(NEXT) | instid1(VALU_DEP_1)
	v_and_b32_e32 v29, 0x80, v10
	v_or_b32_e32 v23, 0x7e, v29
	s_delay_alu instid0(VALU_DEP_4)
	v_cmpx_ne_u64_e32 0x7f800000, v[30:31]
	s_xor_b32 s2, exec_lo, s0
	s_cbranch_execz .LBB1_240
; %bb.225:
	v_dual_mov_b32 v31, v8 :: v_dual_and_b32 v30, 0x7fffffff, v9
	s_mov_b32 s0, exec_lo
	s_delay_alu instid0(VALU_DEP_1)
	v_cmpx_gt_u64_e32 0x43e00001, v[30:31]
	s_xor_b32 s3, exec_lo, s0
	s_cbranch_execz .LBB1_239
; %bb.226:
	v_mov_b32_e32 v23, 0
	s_mov_b32 s4, exec_lo
	v_cmpx_ne_u32_e32 0, v9
	s_cbranch_execz .LBB1_238
; %bb.227:
	v_bfe_u32 v23, v9, 23, 8
	v_or_b32_e32 v31, 0x800000, v7
	s_delay_alu instid0(VALU_DEP_2) | instskip(SKIP_1) | instid1(VALU_DEP_2)
	v_sub_nc_u32_e32 v9, 0x79, v23
	v_cmp_gt_u32_e32 vcc_lo, 0x7a, v23
	v_cndmask_b32_e32 v9, 0, v9, vcc_lo
	v_cmp_eq_u32_e32 vcc_lo, 0, v23
	s_delay_alu instid0(VALU_DEP_2) | instskip(SKIP_1) | instid1(VALU_DEP_2)
	v_cndmask_b32_e64 v30, v9, 0x78, vcc_lo
	v_cndmask_b32_e32 v7, v31, v7, vcc_lo
	v_add_nc_u32_e32 v9, 20, v30
	v_add_nc_u32_e32 v31, 19, v30
	s_delay_alu instid0(VALU_DEP_2) | instskip(NEXT) | instid1(VALU_DEP_1)
	v_lshlrev_b64 v[9:10], v9, -1
	v_not_b32_e32 v33, v9
	s_delay_alu instid0(VALU_DEP_2) | instskip(NEXT) | instid1(VALU_DEP_4)
	v_not_b32_e32 v32, v10
	v_lshlrev_b64 v[9:10], v31, 1
	s_delay_alu instid0(VALU_DEP_3) | instskip(SKIP_1) | instid1(VALU_DEP_4)
	v_and_b32_e32 v31, v7, v33
	v_lshrrev_b64 v[7:8], v30, v[7:8]
	v_and_b32_e32 v32, 0, v32
	s_delay_alu instid0(VALU_DEP_1) | instskip(NEXT) | instid1(VALU_DEP_3)
	v_cmp_eq_u64_e64 s0, v[31:32], v[9:10]
	v_dual_mov_b32 v10, v8 :: v_dual_mov_b32 v9, v7
	s_delay_alu instid0(VALU_DEP_2)
	s_and_saveexec_b32 s5, s0
; %bb.228:
	v_bfe_u32 v9, v7, 20, 1
	s_delay_alu instid0(VALU_DEP_1) | instskip(NEXT) | instid1(VALU_DEP_1)
	v_add_co_u32 v9, s0, v7, v9
	v_add_co_u32 v9, s0, v9, -1
; %bb.229:
	s_or_b32 exec_lo, exec_lo, s5
	v_add_nc_u32_e32 v10, 0xffffff81, v23
	v_lshrrev_b32_e32 v23, 23, v7
	s_delay_alu instid0(VALU_DEP_3) | instskip(SKIP_1) | instid1(VALU_DEP_3)
	v_and_b32_e32 v9, 0xfffff, v9
	s_mov_b32 s0, exec_lo
	v_cndmask_b32_e64 v10, v10, 0xffffff82, vcc_lo
	s_delay_alu instid0(VALU_DEP_2) | instskip(SKIP_1) | instid1(VALU_DEP_3)
	v_add_co_u32 v7, vcc_lo, v9, v7
	v_add_co_ci_u32_e32 v8, vcc_lo, 0, v8, vcc_lo
	v_add3_u32 v10, v30, v10, v23
                                        ; implicit-def: $vgpr9
	s_delay_alu instid0(VALU_DEP_1) | instskip(NEXT) | instid1(VALU_DEP_1)
	v_add_nc_u32_e32 v23, 6, v10
	v_cmpx_ne_u32_e32 0, v23
	s_xor_b32 s0, exec_lo, s0
; %bb.230:
	v_cmp_lt_u64_e32 vcc_lo, 0xffffff, v[7:8]
	v_add_nc_u32_e32 v9, 7, v10
	v_cndmask_b32_e64 v10, 0, 1, vcc_lo
	s_delay_alu instid0(VALU_DEP_2) | instskip(NEXT) | instid1(VALU_DEP_2)
	v_cndmask_b32_e32 v9, v23, v9, vcc_lo
	v_lshrrev_b64 v[7:8], v10, v[7:8]
; %bb.231:
	s_and_not1_saveexec_b32 s0, s0
; %bb.232:
	s_delay_alu instid0(VALU_DEP_1)
	v_bfe_u32 v9, v7, 23, 1
; %bb.233:
	s_or_b32 exec_lo, exec_lo, s0
	s_delay_alu instid0(VALU_DEP_2) | instskip(NEXT) | instid1(VALU_DEP_2)
	v_lshrrev_b64 v[7:8], 20, v[7:8]
	v_cmp_gt_i32_e32 vcc_lo, 16, v9
	v_cmp_ne_u32_e64 s0, 0, v9
                                        ; implicit-def: $vgpr23
	s_delay_alu instid0(VALU_DEP_3) | instskip(NEXT) | instid1(VALU_DEP_1)
	v_dual_cndmask_b32 v8, 0, v8 :: v_dual_cndmask_b32 v7, 7, v7
	v_cmp_ne_u64_e32 vcc_lo, 0, v[7:8]
	s_delay_alu instid0(VALU_DEP_3) | instskip(NEXT) | instid1(SALU_CYCLE_1)
	s_or_b32 s0, s0, vcc_lo
	s_and_saveexec_b32 s5, s0
	s_delay_alu instid0(SALU_CYCLE_1)
	s_xor_b32 s0, exec_lo, s5
; %bb.234:
	v_min_i32_e32 v8, 15, v9
	s_delay_alu instid0(VALU_DEP_1) | instskip(NEXT) | instid1(VALU_DEP_1)
	v_lshl_or_b32 v8, v8, 3, v29
                                        ; implicit-def: $vgpr29
	v_and_or_b32 v23, v7, 7, v8
; %bb.235:
	s_and_not1_saveexec_b32 s0, s0
; %bb.236:
	v_mov_b32_e32 v23, v29
; %bb.237:
	s_or_b32 exec_lo, exec_lo, s0
.LBB1_238:
	s_delay_alu instid0(SALU_CYCLE_1)
	s_or_b32 exec_lo, exec_lo, s4
.LBB1_239:
	s_and_not1_saveexec_b32 s0, s3
	s_delay_alu instid0(SALU_CYCLE_1)
	s_or_b32 exec_lo, exec_lo, s0
                                        ; implicit-def: $vgpr10
                                        ; implicit-def: $vgpr7_vgpr8
.LBB1_240:
	s_and_not1_saveexec_b32 s0, s2
; %bb.241:
	v_cmp_eq_u64_e32 vcc_lo, 0, v[7:8]
	v_or_b32_e32 v9, 0x7f, v10
	s_delay_alu instid0(VALU_DEP_1)
	v_cndmask_b32_e32 v23, v9, v23, vcc_lo
; %bb.242:
	s_or_b32 exec_lo, exec_lo, s0
	v_dual_mul_f32 v7, v14, v22 :: v_dual_mov_b32 v8, 0
	s_mov_b32 s0, 0xc3e00000
	s_delay_alu instid0(VALU_DEP_1) | instid1(SALU_CYCLE_1)
	v_maxmin_f32 v9, v7, s0, 0x43e00000
	s_mov_b32 s0, exec_lo
	s_delay_alu instid0(VALU_DEP_2) | instskip(NEXT) | instid1(VALU_DEP_2)
	v_mov_b32_e32 v31, v8
	v_lshrrev_b32_e32 v10, 24, v9
	v_and_b32_e32 v30, 0x7f800000, v9
	v_and_b32_e32 v7, 0x7fffff, v9
	s_delay_alu instid0(VALU_DEP_3) | instskip(NEXT) | instid1(VALU_DEP_1)
	v_and_b32_e32 v29, 0x80, v10
	v_or_b32_e32 v22, 0x7e, v29
	s_delay_alu instid0(VALU_DEP_4)
	v_cmpx_ne_u64_e32 0x7f800000, v[30:31]
	s_xor_b32 s2, exec_lo, s0
	s_cbranch_execz .LBB1_258
; %bb.243:
	v_dual_mov_b32 v31, v8 :: v_dual_and_b32 v30, 0x7fffffff, v9
	s_mov_b32 s0, exec_lo
	s_delay_alu instid0(VALU_DEP_1)
	v_cmpx_gt_u64_e32 0x43e00001, v[30:31]
	s_xor_b32 s3, exec_lo, s0
	s_cbranch_execz .LBB1_257
; %bb.244:
	v_mov_b32_e32 v22, 0
	s_mov_b32 s4, exec_lo
	v_cmpx_ne_u32_e32 0, v9
	s_cbranch_execz .LBB1_256
; %bb.245:
	v_bfe_u32 v22, v9, 23, 8
	v_or_b32_e32 v31, 0x800000, v7
	s_delay_alu instid0(VALU_DEP_2) | instskip(SKIP_1) | instid1(VALU_DEP_2)
	v_sub_nc_u32_e32 v9, 0x79, v22
	v_cmp_gt_u32_e32 vcc_lo, 0x7a, v22
	v_cndmask_b32_e32 v9, 0, v9, vcc_lo
	v_cmp_eq_u32_e32 vcc_lo, 0, v22
	s_delay_alu instid0(VALU_DEP_2) | instskip(SKIP_1) | instid1(VALU_DEP_2)
	v_cndmask_b32_e64 v30, v9, 0x78, vcc_lo
	v_cndmask_b32_e32 v7, v31, v7, vcc_lo
	v_add_nc_u32_e32 v9, 20, v30
	v_add_nc_u32_e32 v31, 19, v30
	s_delay_alu instid0(VALU_DEP_2) | instskip(NEXT) | instid1(VALU_DEP_1)
	v_lshlrev_b64 v[9:10], v9, -1
	v_not_b32_e32 v33, v9
	s_delay_alu instid0(VALU_DEP_2) | instskip(NEXT) | instid1(VALU_DEP_4)
	v_not_b32_e32 v32, v10
	v_lshlrev_b64 v[9:10], v31, 1
	s_delay_alu instid0(VALU_DEP_3) | instskip(SKIP_1) | instid1(VALU_DEP_4)
	v_and_b32_e32 v31, v7, v33
	v_lshrrev_b64 v[7:8], v30, v[7:8]
	v_and_b32_e32 v32, 0, v32
	s_delay_alu instid0(VALU_DEP_1) | instskip(NEXT) | instid1(VALU_DEP_3)
	v_cmp_eq_u64_e64 s0, v[31:32], v[9:10]
	v_dual_mov_b32 v10, v8 :: v_dual_mov_b32 v9, v7
	s_delay_alu instid0(VALU_DEP_2)
	s_and_saveexec_b32 s5, s0
; %bb.246:
	v_bfe_u32 v9, v7, 20, 1
	s_delay_alu instid0(VALU_DEP_1) | instskip(NEXT) | instid1(VALU_DEP_1)
	v_add_co_u32 v9, s0, v7, v9
	v_add_co_u32 v9, s0, v9, -1
; %bb.247:
	s_or_b32 exec_lo, exec_lo, s5
	v_add_nc_u32_e32 v10, 0xffffff81, v22
	v_lshrrev_b32_e32 v22, 23, v7
	s_delay_alu instid0(VALU_DEP_3) | instskip(SKIP_1) | instid1(VALU_DEP_3)
	v_and_b32_e32 v9, 0xfffff, v9
	s_mov_b32 s0, exec_lo
	v_cndmask_b32_e64 v10, v10, 0xffffff82, vcc_lo
	s_delay_alu instid0(VALU_DEP_2) | instskip(SKIP_1) | instid1(VALU_DEP_3)
	v_add_co_u32 v7, vcc_lo, v9, v7
	v_add_co_ci_u32_e32 v8, vcc_lo, 0, v8, vcc_lo
	v_add3_u32 v10, v30, v10, v22
                                        ; implicit-def: $vgpr9
	s_delay_alu instid0(VALU_DEP_1) | instskip(NEXT) | instid1(VALU_DEP_1)
	v_add_nc_u32_e32 v22, 6, v10
	v_cmpx_ne_u32_e32 0, v22
	s_xor_b32 s0, exec_lo, s0
; %bb.248:
	v_cmp_lt_u64_e32 vcc_lo, 0xffffff, v[7:8]
	v_add_nc_u32_e32 v9, 7, v10
	v_cndmask_b32_e64 v10, 0, 1, vcc_lo
	s_delay_alu instid0(VALU_DEP_2) | instskip(NEXT) | instid1(VALU_DEP_2)
	v_cndmask_b32_e32 v9, v22, v9, vcc_lo
	v_lshrrev_b64 v[7:8], v10, v[7:8]
; %bb.249:
	s_and_not1_saveexec_b32 s0, s0
; %bb.250:
	s_delay_alu instid0(VALU_DEP_1)
	v_bfe_u32 v9, v7, 23, 1
; %bb.251:
	s_or_b32 exec_lo, exec_lo, s0
	s_delay_alu instid0(VALU_DEP_2) | instskip(NEXT) | instid1(VALU_DEP_2)
	v_lshrrev_b64 v[7:8], 20, v[7:8]
	v_cmp_gt_i32_e32 vcc_lo, 16, v9
	v_cmp_ne_u32_e64 s0, 0, v9
                                        ; implicit-def: $vgpr22
	s_delay_alu instid0(VALU_DEP_3) | instskip(NEXT) | instid1(VALU_DEP_1)
	v_dual_cndmask_b32 v8, 0, v8 :: v_dual_cndmask_b32 v7, 7, v7
	v_cmp_ne_u64_e32 vcc_lo, 0, v[7:8]
	s_delay_alu instid0(VALU_DEP_3) | instskip(NEXT) | instid1(SALU_CYCLE_1)
	s_or_b32 s0, s0, vcc_lo
	s_and_saveexec_b32 s5, s0
	s_delay_alu instid0(SALU_CYCLE_1)
	s_xor_b32 s0, exec_lo, s5
; %bb.252:
	v_min_i32_e32 v8, 15, v9
	s_delay_alu instid0(VALU_DEP_1) | instskip(NEXT) | instid1(VALU_DEP_1)
	v_lshl_or_b32 v8, v8, 3, v29
                                        ; implicit-def: $vgpr29
	v_and_or_b32 v22, v7, 7, v8
; %bb.253:
	s_and_not1_saveexec_b32 s0, s0
; %bb.254:
	v_mov_b32_e32 v22, v29
; %bb.255:
	s_or_b32 exec_lo, exec_lo, s0
.LBB1_256:
	s_delay_alu instid0(SALU_CYCLE_1)
	s_or_b32 exec_lo, exec_lo, s4
.LBB1_257:
	s_and_not1_saveexec_b32 s0, s3
	s_delay_alu instid0(SALU_CYCLE_1)
	s_or_b32 exec_lo, exec_lo, s0
                                        ; implicit-def: $vgpr10
                                        ; implicit-def: $vgpr7_vgpr8
.LBB1_258:
	s_and_not1_saveexec_b32 s0, s2
; %bb.259:
	v_cmp_eq_u64_e32 vcc_lo, 0, v[7:8]
	v_or_b32_e32 v9, 0x7f, v10
	s_delay_alu instid0(VALU_DEP_1)
	v_cndmask_b32_e32 v22, v9, v22, vcc_lo
; %bb.260:
	s_or_b32 exec_lo, exec_lo, s0
	v_dual_mul_f32 v7, v14, v21 :: v_dual_mov_b32 v8, 0
	s_mov_b32 s0, 0xc3e00000
	s_delay_alu instid0(VALU_DEP_1) | instid1(SALU_CYCLE_1)
	v_maxmin_f32 v9, v7, s0, 0x43e00000
	s_mov_b32 s0, exec_lo
	s_delay_alu instid0(VALU_DEP_2) | instskip(NEXT) | instid1(VALU_DEP_2)
	v_mov_b32_e32 v31, v8
	v_lshrrev_b32_e32 v10, 24, v9
	v_and_b32_e32 v30, 0x7f800000, v9
	v_and_b32_e32 v7, 0x7fffff, v9
	s_delay_alu instid0(VALU_DEP_3) | instskip(NEXT) | instid1(VALU_DEP_1)
	v_and_b32_e32 v29, 0x80, v10
	v_or_b32_e32 v21, 0x7e, v29
	s_delay_alu instid0(VALU_DEP_4)
	v_cmpx_ne_u64_e32 0x7f800000, v[30:31]
	s_xor_b32 s2, exec_lo, s0
	s_cbranch_execz .LBB1_276
; %bb.261:
	v_dual_mov_b32 v31, v8 :: v_dual_and_b32 v30, 0x7fffffff, v9
	s_mov_b32 s0, exec_lo
	s_delay_alu instid0(VALU_DEP_1)
	v_cmpx_gt_u64_e32 0x43e00001, v[30:31]
	s_xor_b32 s3, exec_lo, s0
	s_cbranch_execz .LBB1_275
; %bb.262:
	v_mov_b32_e32 v21, 0
	s_mov_b32 s4, exec_lo
	v_cmpx_ne_u32_e32 0, v9
	s_cbranch_execz .LBB1_274
; %bb.263:
	v_bfe_u32 v21, v9, 23, 8
	v_or_b32_e32 v31, 0x800000, v7
	s_delay_alu instid0(VALU_DEP_2) | instskip(SKIP_1) | instid1(VALU_DEP_2)
	v_sub_nc_u32_e32 v9, 0x79, v21
	v_cmp_gt_u32_e32 vcc_lo, 0x7a, v21
	v_cndmask_b32_e32 v9, 0, v9, vcc_lo
	v_cmp_eq_u32_e32 vcc_lo, 0, v21
	s_delay_alu instid0(VALU_DEP_2) | instskip(SKIP_1) | instid1(VALU_DEP_2)
	v_cndmask_b32_e64 v30, v9, 0x78, vcc_lo
	v_cndmask_b32_e32 v7, v31, v7, vcc_lo
	v_add_nc_u32_e32 v9, 20, v30
	v_add_nc_u32_e32 v31, 19, v30
	s_delay_alu instid0(VALU_DEP_2) | instskip(NEXT) | instid1(VALU_DEP_1)
	v_lshlrev_b64 v[9:10], v9, -1
	v_not_b32_e32 v33, v9
	s_delay_alu instid0(VALU_DEP_2) | instskip(NEXT) | instid1(VALU_DEP_4)
	v_not_b32_e32 v32, v10
	v_lshlrev_b64 v[9:10], v31, 1
	s_delay_alu instid0(VALU_DEP_3) | instskip(SKIP_1) | instid1(VALU_DEP_4)
	v_and_b32_e32 v31, v7, v33
	v_lshrrev_b64 v[7:8], v30, v[7:8]
	v_and_b32_e32 v32, 0, v32
	s_delay_alu instid0(VALU_DEP_1) | instskip(NEXT) | instid1(VALU_DEP_3)
	v_cmp_eq_u64_e64 s0, v[31:32], v[9:10]
	v_dual_mov_b32 v10, v8 :: v_dual_mov_b32 v9, v7
	s_delay_alu instid0(VALU_DEP_2)
	s_and_saveexec_b32 s5, s0
; %bb.264:
	v_bfe_u32 v9, v7, 20, 1
	s_delay_alu instid0(VALU_DEP_1) | instskip(NEXT) | instid1(VALU_DEP_1)
	v_add_co_u32 v9, s0, v7, v9
	v_add_co_u32 v9, s0, v9, -1
; %bb.265:
	s_or_b32 exec_lo, exec_lo, s5
	v_add_nc_u32_e32 v10, 0xffffff81, v21
	v_lshrrev_b32_e32 v21, 23, v7
	s_delay_alu instid0(VALU_DEP_3) | instskip(SKIP_1) | instid1(VALU_DEP_3)
	v_and_b32_e32 v9, 0xfffff, v9
	s_mov_b32 s0, exec_lo
	v_cndmask_b32_e64 v10, v10, 0xffffff82, vcc_lo
	s_delay_alu instid0(VALU_DEP_2) | instskip(SKIP_1) | instid1(VALU_DEP_3)
	v_add_co_u32 v7, vcc_lo, v9, v7
	v_add_co_ci_u32_e32 v8, vcc_lo, 0, v8, vcc_lo
	v_add3_u32 v10, v30, v10, v21
                                        ; implicit-def: $vgpr9
	s_delay_alu instid0(VALU_DEP_1) | instskip(NEXT) | instid1(VALU_DEP_1)
	v_add_nc_u32_e32 v21, 6, v10
	v_cmpx_ne_u32_e32 0, v21
	s_xor_b32 s0, exec_lo, s0
; %bb.266:
	v_cmp_lt_u64_e32 vcc_lo, 0xffffff, v[7:8]
	v_add_nc_u32_e32 v9, 7, v10
	v_cndmask_b32_e64 v10, 0, 1, vcc_lo
	s_delay_alu instid0(VALU_DEP_2) | instskip(NEXT) | instid1(VALU_DEP_2)
	v_cndmask_b32_e32 v9, v21, v9, vcc_lo
	v_lshrrev_b64 v[7:8], v10, v[7:8]
; %bb.267:
	s_and_not1_saveexec_b32 s0, s0
; %bb.268:
	s_delay_alu instid0(VALU_DEP_1)
	v_bfe_u32 v9, v7, 23, 1
; %bb.269:
	s_or_b32 exec_lo, exec_lo, s0
	s_delay_alu instid0(VALU_DEP_2) | instskip(NEXT) | instid1(VALU_DEP_2)
	v_lshrrev_b64 v[7:8], 20, v[7:8]
	v_cmp_gt_i32_e32 vcc_lo, 16, v9
	v_cmp_ne_u32_e64 s0, 0, v9
                                        ; implicit-def: $vgpr21
	s_delay_alu instid0(VALU_DEP_3) | instskip(NEXT) | instid1(VALU_DEP_1)
	v_dual_cndmask_b32 v8, 0, v8 :: v_dual_cndmask_b32 v7, 7, v7
	v_cmp_ne_u64_e32 vcc_lo, 0, v[7:8]
	s_delay_alu instid0(VALU_DEP_3) | instskip(NEXT) | instid1(SALU_CYCLE_1)
	s_or_b32 s0, s0, vcc_lo
	s_and_saveexec_b32 s5, s0
	s_delay_alu instid0(SALU_CYCLE_1)
	s_xor_b32 s0, exec_lo, s5
; %bb.270:
	v_min_i32_e32 v8, 15, v9
	s_delay_alu instid0(VALU_DEP_1) | instskip(NEXT) | instid1(VALU_DEP_1)
	v_lshl_or_b32 v8, v8, 3, v29
                                        ; implicit-def: $vgpr29
	v_and_or_b32 v21, v7, 7, v8
; %bb.271:
	s_and_not1_saveexec_b32 s0, s0
; %bb.272:
	v_mov_b32_e32 v21, v29
; %bb.273:
	s_or_b32 exec_lo, exec_lo, s0
.LBB1_274:
	s_delay_alu instid0(SALU_CYCLE_1)
	s_or_b32 exec_lo, exec_lo, s4
.LBB1_275:
	s_and_not1_saveexec_b32 s0, s3
	s_delay_alu instid0(SALU_CYCLE_1)
	s_or_b32 exec_lo, exec_lo, s0
                                        ; implicit-def: $vgpr10
                                        ; implicit-def: $vgpr7_vgpr8
.LBB1_276:
	s_and_not1_saveexec_b32 s0, s2
; %bb.277:
	v_cmp_eq_u64_e32 vcc_lo, 0, v[7:8]
	v_or_b32_e32 v9, 0x7f, v10
	s_delay_alu instid0(VALU_DEP_1)
	v_cndmask_b32_e32 v21, v9, v21, vcc_lo
; %bb.278:
	s_or_b32 exec_lo, exec_lo, s0
	v_dual_mul_f32 v7, v14, v16 :: v_dual_mov_b32 v8, 0
	s_mov_b32 s0, 0xc3e00000
	s_delay_alu instid0(VALU_DEP_1) | instid1(SALU_CYCLE_1)
	v_maxmin_f32 v9, v7, s0, 0x43e00000
	s_mov_b32 s0, exec_lo
	s_delay_alu instid0(VALU_DEP_2) | instskip(NEXT) | instid1(VALU_DEP_2)
	v_mov_b32_e32 v31, v8
	v_lshrrev_b32_e32 v10, 24, v9
	v_and_b32_e32 v30, 0x7f800000, v9
	v_and_b32_e32 v7, 0x7fffff, v9
	s_delay_alu instid0(VALU_DEP_3) | instskip(NEXT) | instid1(VALU_DEP_1)
	v_and_b32_e32 v29, 0x80, v10
	v_or_b32_e32 v16, 0x7e, v29
	s_delay_alu instid0(VALU_DEP_4)
	v_cmpx_ne_u64_e32 0x7f800000, v[30:31]
	s_xor_b32 s2, exec_lo, s0
	s_cbranch_execz .LBB1_294
; %bb.279:
	v_dual_mov_b32 v31, v8 :: v_dual_and_b32 v30, 0x7fffffff, v9
	s_mov_b32 s0, exec_lo
	s_delay_alu instid0(VALU_DEP_1)
	v_cmpx_gt_u64_e32 0x43e00001, v[30:31]
	s_xor_b32 s3, exec_lo, s0
	s_cbranch_execz .LBB1_293
; %bb.280:
	v_mov_b32_e32 v16, 0
	s_mov_b32 s4, exec_lo
	v_cmpx_ne_u32_e32 0, v9
	s_cbranch_execz .LBB1_292
; %bb.281:
	v_bfe_u32 v16, v9, 23, 8
	v_or_b32_e32 v31, 0x800000, v7
	s_delay_alu instid0(VALU_DEP_2) | instskip(SKIP_1) | instid1(VALU_DEP_2)
	v_sub_nc_u32_e32 v9, 0x79, v16
	v_cmp_gt_u32_e32 vcc_lo, 0x7a, v16
	v_cndmask_b32_e32 v9, 0, v9, vcc_lo
	v_cmp_eq_u32_e32 vcc_lo, 0, v16
	s_delay_alu instid0(VALU_DEP_2) | instskip(SKIP_1) | instid1(VALU_DEP_2)
	v_cndmask_b32_e64 v30, v9, 0x78, vcc_lo
	v_cndmask_b32_e32 v7, v31, v7, vcc_lo
	v_add_nc_u32_e32 v9, 20, v30
	v_add_nc_u32_e32 v31, 19, v30
	s_delay_alu instid0(VALU_DEP_2) | instskip(NEXT) | instid1(VALU_DEP_1)
	v_lshlrev_b64 v[9:10], v9, -1
	v_not_b32_e32 v33, v9
	s_delay_alu instid0(VALU_DEP_2) | instskip(NEXT) | instid1(VALU_DEP_4)
	v_not_b32_e32 v32, v10
	v_lshlrev_b64 v[9:10], v31, 1
	s_delay_alu instid0(VALU_DEP_3) | instskip(SKIP_1) | instid1(VALU_DEP_4)
	v_and_b32_e32 v31, v7, v33
	v_lshrrev_b64 v[7:8], v30, v[7:8]
	v_and_b32_e32 v32, 0, v32
	s_delay_alu instid0(VALU_DEP_1) | instskip(NEXT) | instid1(VALU_DEP_3)
	v_cmp_eq_u64_e64 s0, v[31:32], v[9:10]
	v_dual_mov_b32 v10, v8 :: v_dual_mov_b32 v9, v7
	s_delay_alu instid0(VALU_DEP_2)
	s_and_saveexec_b32 s5, s0
; %bb.282:
	v_bfe_u32 v9, v7, 20, 1
	s_delay_alu instid0(VALU_DEP_1) | instskip(NEXT) | instid1(VALU_DEP_1)
	v_add_co_u32 v9, s0, v7, v9
	v_add_co_u32 v9, s0, v9, -1
; %bb.283:
	s_or_b32 exec_lo, exec_lo, s5
	v_add_nc_u32_e32 v10, 0xffffff81, v16
	v_lshrrev_b32_e32 v16, 23, v7
	s_delay_alu instid0(VALU_DEP_3) | instskip(SKIP_1) | instid1(VALU_DEP_3)
	v_and_b32_e32 v9, 0xfffff, v9
	s_mov_b32 s0, exec_lo
	v_cndmask_b32_e64 v10, v10, 0xffffff82, vcc_lo
	s_delay_alu instid0(VALU_DEP_2) | instskip(SKIP_1) | instid1(VALU_DEP_3)
	v_add_co_u32 v7, vcc_lo, v9, v7
	v_add_co_ci_u32_e32 v8, vcc_lo, 0, v8, vcc_lo
	v_add3_u32 v10, v30, v10, v16
                                        ; implicit-def: $vgpr9
	s_delay_alu instid0(VALU_DEP_1) | instskip(NEXT) | instid1(VALU_DEP_1)
	v_add_nc_u32_e32 v16, 6, v10
	v_cmpx_ne_u32_e32 0, v16
	s_xor_b32 s0, exec_lo, s0
; %bb.284:
	v_cmp_lt_u64_e32 vcc_lo, 0xffffff, v[7:8]
	v_add_nc_u32_e32 v9, 7, v10
	v_cndmask_b32_e64 v10, 0, 1, vcc_lo
	s_delay_alu instid0(VALU_DEP_2) | instskip(NEXT) | instid1(VALU_DEP_2)
	v_cndmask_b32_e32 v9, v16, v9, vcc_lo
	v_lshrrev_b64 v[7:8], v10, v[7:8]
; %bb.285:
	s_and_not1_saveexec_b32 s0, s0
; %bb.286:
	s_delay_alu instid0(VALU_DEP_1)
	v_bfe_u32 v9, v7, 23, 1
; %bb.287:
	s_or_b32 exec_lo, exec_lo, s0
	s_delay_alu instid0(VALU_DEP_2) | instskip(NEXT) | instid1(VALU_DEP_2)
	v_lshrrev_b64 v[7:8], 20, v[7:8]
	v_cmp_gt_i32_e32 vcc_lo, 16, v9
	v_cmp_ne_u32_e64 s0, 0, v9
                                        ; implicit-def: $vgpr16
	s_delay_alu instid0(VALU_DEP_3) | instskip(NEXT) | instid1(VALU_DEP_1)
	v_dual_cndmask_b32 v8, 0, v8 :: v_dual_cndmask_b32 v7, 7, v7
	v_cmp_ne_u64_e32 vcc_lo, 0, v[7:8]
	s_delay_alu instid0(VALU_DEP_3) | instskip(NEXT) | instid1(SALU_CYCLE_1)
	s_or_b32 s0, s0, vcc_lo
	s_and_saveexec_b32 s5, s0
	s_delay_alu instid0(SALU_CYCLE_1)
	s_xor_b32 s0, exec_lo, s5
; %bb.288:
	v_min_i32_e32 v8, 15, v9
	s_delay_alu instid0(VALU_DEP_1) | instskip(NEXT) | instid1(VALU_DEP_1)
	v_lshl_or_b32 v8, v8, 3, v29
                                        ; implicit-def: $vgpr29
	v_and_or_b32 v16, v7, 7, v8
; %bb.289:
	s_and_not1_saveexec_b32 s0, s0
; %bb.290:
	v_mov_b32_e32 v16, v29
; %bb.291:
	s_or_b32 exec_lo, exec_lo, s0
.LBB1_292:
	s_delay_alu instid0(SALU_CYCLE_1)
	s_or_b32 exec_lo, exec_lo, s4
.LBB1_293:
	s_and_not1_saveexec_b32 s0, s3
	s_delay_alu instid0(SALU_CYCLE_1)
	s_or_b32 exec_lo, exec_lo, s0
                                        ; implicit-def: $vgpr10
                                        ; implicit-def: $vgpr7_vgpr8
.LBB1_294:
	s_and_not1_saveexec_b32 s0, s2
; %bb.295:
	v_cmp_eq_u64_e32 vcc_lo, 0, v[7:8]
	v_or_b32_e32 v9, 0x7f, v10
	s_delay_alu instid0(VALU_DEP_1)
	v_cndmask_b32_e32 v16, v9, v16, vcc_lo
; %bb.296:
	s_or_b32 exec_lo, exec_lo, s0
	v_dual_mul_f32 v7, v14, v13 :: v_dual_mov_b32 v8, 0
	s_mov_b32 s0, 0xc3e00000
	s_delay_alu instid0(VALU_DEP_1) | instid1(SALU_CYCLE_1)
	v_maxmin_f32 v10, v7, s0, 0x43e00000
	s_mov_b32 s0, exec_lo
	s_delay_alu instid0(VALU_DEP_2) | instskip(NEXT) | instid1(VALU_DEP_2)
	v_mov_b32_e32 v30, v8
	v_lshrrev_b32_e32 v14, 24, v10
	v_and_b32_e32 v29, 0x7f800000, v10
	v_and_b32_e32 v7, 0x7fffff, v10
	s_delay_alu instid0(VALU_DEP_3) | instskip(NEXT) | instid1(VALU_DEP_1)
	v_and_b32_e32 v13, 0x80, v14
	v_or_b32_e32 v9, 0x7e, v13
	s_delay_alu instid0(VALU_DEP_4)
	v_cmpx_ne_u64_e32 0x7f800000, v[29:30]
	s_xor_b32 s2, exec_lo, s0
	s_cbranch_execz .LBB1_312
; %bb.297:
	v_dual_mov_b32 v30, v8 :: v_dual_and_b32 v29, 0x7fffffff, v10
	s_mov_b32 s0, exec_lo
	s_delay_alu instid0(VALU_DEP_1)
	v_cmpx_gt_u64_e32 0x43e00001, v[29:30]
	s_xor_b32 s3, exec_lo, s0
	s_cbranch_execz .LBB1_311
; %bb.298:
	v_mov_b32_e32 v9, 0
	s_mov_b32 s4, exec_lo
	v_cmpx_ne_u32_e32 0, v10
	s_cbranch_execz .LBB1_310
; %bb.299:
	v_bfe_u32 v14, v10, 23, 8
	v_or_b32_e32 v30, 0x800000, v7
	s_delay_alu instid0(VALU_DEP_2) | instskip(SKIP_1) | instid1(VALU_DEP_2)
	v_sub_nc_u32_e32 v9, 0x79, v14
	v_cmp_gt_u32_e32 vcc_lo, 0x7a, v14
	v_cndmask_b32_e32 v9, 0, v9, vcc_lo
	v_cmp_eq_u32_e32 vcc_lo, 0, v14
	s_delay_alu instid0(VALU_DEP_2) | instskip(NEXT) | instid1(VALU_DEP_1)
	v_cndmask_b32_e64 v29, v9, 0x78, vcc_lo
	v_dual_cndmask_b32 v7, v30, v7 :: v_dual_add_nc_u32 v30, 19, v29
	v_add_nc_u32_e32 v9, 20, v29
	s_delay_alu instid0(VALU_DEP_1) | instskip(NEXT) | instid1(VALU_DEP_1)
	v_lshlrev_b64 v[9:10], v9, -1
	v_not_b32_e32 v32, v9
	s_delay_alu instid0(VALU_DEP_2) | instskip(SKIP_1) | instid1(VALU_DEP_3)
	v_not_b32_e32 v31, v10
	v_lshlrev_b64 v[9:10], v30, 1
	v_and_b32_e32 v30, v7, v32
	v_lshrrev_b64 v[7:8], v29, v[7:8]
	s_delay_alu instid0(VALU_DEP_4) | instskip(NEXT) | instid1(VALU_DEP_1)
	v_and_b32_e32 v31, 0, v31
	v_cmp_eq_u64_e64 s0, v[30:31], v[9:10]
	s_delay_alu instid0(VALU_DEP_3) | instskip(NEXT) | instid1(VALU_DEP_2)
	v_dual_mov_b32 v10, v8 :: v_dual_mov_b32 v9, v7
	s_and_saveexec_b32 s5, s0
; %bb.300:
	v_bfe_u32 v9, v7, 20, 1
	s_delay_alu instid0(VALU_DEP_1) | instskip(NEXT) | instid1(VALU_DEP_1)
	v_add_co_u32 v9, s0, v7, v9
	v_add_co_u32 v9, s0, v9, -1
; %bb.301:
	s_or_b32 exec_lo, exec_lo, s5
	v_add_nc_u32_e32 v10, 0xffffff81, v14
	v_lshrrev_b32_e32 v14, 23, v7
	s_mov_b32 s0, exec_lo
	s_delay_alu instid0(VALU_DEP_2) | instskip(NEXT) | instid1(VALU_DEP_1)
	v_cndmask_b32_e64 v10, v10, 0xffffff82, vcc_lo
	v_add3_u32 v14, v29, v10, v14
	v_and_b32_e32 v10, 0xfffff, v9
	s_delay_alu instid0(VALU_DEP_2) | instskip(NEXT) | instid1(VALU_DEP_2)
	v_add_nc_u32_e32 v9, 6, v14
	v_add_co_u32 v7, vcc_lo, v10, v7
	v_add_co_ci_u32_e32 v8, vcc_lo, 0, v8, vcc_lo
                                        ; implicit-def: $vgpr10
	s_delay_alu instid0(VALU_DEP_3)
	v_cmpx_ne_u32_e32 0, v9
	s_xor_b32 s0, exec_lo, s0
; %bb.302:
	s_delay_alu instid0(VALU_DEP_2) | instskip(SKIP_1) | instid1(VALU_DEP_1)
	v_cmp_lt_u64_e32 vcc_lo, 0xffffff, v[7:8]
	v_add_nc_u32_e32 v10, 7, v14
	v_cndmask_b32_e32 v10, v9, v10, vcc_lo
	v_cndmask_b32_e64 v9, 0, 1, vcc_lo
	s_delay_alu instid0(VALU_DEP_1)
	v_lshrrev_b64 v[7:8], v9, v[7:8]
; %bb.303:
	s_and_not1_saveexec_b32 s0, s0
; %bb.304:
	s_delay_alu instid0(VALU_DEP_1)
	v_bfe_u32 v10, v7, 23, 1
; %bb.305:
	s_or_b32 exec_lo, exec_lo, s0
	s_delay_alu instid0(VALU_DEP_2) | instskip(NEXT) | instid1(VALU_DEP_2)
	v_lshrrev_b64 v[7:8], 20, v[7:8]
	v_cmp_gt_i32_e32 vcc_lo, 16, v10
	v_cmp_ne_u32_e64 s0, 0, v10
                                        ; implicit-def: $vgpr9
	s_delay_alu instid0(VALU_DEP_3) | instskip(NEXT) | instid1(VALU_DEP_1)
	v_dual_cndmask_b32 v8, 0, v8 :: v_dual_cndmask_b32 v7, 7, v7
	v_cmp_ne_u64_e32 vcc_lo, 0, v[7:8]
	s_delay_alu instid0(VALU_DEP_3) | instskip(NEXT) | instid1(SALU_CYCLE_1)
	s_or_b32 s0, s0, vcc_lo
	s_and_saveexec_b32 s5, s0
	s_delay_alu instid0(SALU_CYCLE_1)
	s_xor_b32 s0, exec_lo, s5
; %bb.306:
	v_min_i32_e32 v8, 15, v10
	s_delay_alu instid0(VALU_DEP_1) | instskip(NEXT) | instid1(VALU_DEP_1)
	v_lshl_or_b32 v8, v8, 3, v13
                                        ; implicit-def: $vgpr13
	v_and_or_b32 v9, v7, 7, v8
; %bb.307:
	s_and_not1_saveexec_b32 s0, s0
; %bb.308:
	v_mov_b32_e32 v9, v13
; %bb.309:
	s_or_b32 exec_lo, exec_lo, s0
.LBB1_310:
	s_delay_alu instid0(SALU_CYCLE_1)
	s_or_b32 exec_lo, exec_lo, s4
.LBB1_311:
	s_and_not1_saveexec_b32 s0, s3
	s_delay_alu instid0(SALU_CYCLE_1)
	s_or_b32 exec_lo, exec_lo, s0
                                        ; implicit-def: $vgpr14
                                        ; implicit-def: $vgpr7_vgpr8
.LBB1_312:
	s_and_not1_saveexec_b32 s0, s2
; %bb.313:
	v_cmp_eq_u64_e32 vcc_lo, 0, v[7:8]
	v_or_b32_e32 v10, 0x7f, v14
	s_delay_alu instid0(VALU_DEP_1)
	v_cndmask_b32_e32 v9, v10, v9, vcc_lo
; %bb.314:
	s_or_b32 exec_lo, exec_lo, s0
	v_mad_i64_i32 v[7:8], null, 0x240, s8, v[3:4]
	v_lshlrev_b64 v[5:6], 3, v[5:6]
	v_lshlrev_b16 v10, 8, v21
	v_and_b32_e32 v13, 0xff, v22
	v_lshlrev_b16 v9, 8, v9
	v_and_b32_e32 v14, 0xff, v16
	;; [unrolled: 2-line block ×3, first 2 shown]
	v_add_co_u32 v3, vcc_lo, v7, v5
	v_add_co_ci_u32_e32 v4, vcc_lo, v8, v6, vcc_lo
	v_or_b32_e32 v5, v13, v10
	v_or_b32_e32 v6, v14, v9
	;; [unrolled: 1-line block ×3, first 2 shown]
	v_lshlrev_b16 v8, 8, v23
	v_and_b32_e32 v9, 0xff, v24
	v_lshlrev_b16 v10, 8, v20
	v_and_b32_e32 v13, 0xff, v19
	;; [unrolled: 2-line block ×5, first 2 shown]
	v_or_b32_e32 v8, v9, v8
	v_or_b32_e32 v9, v13, v10
	;; [unrolled: 1-line block ×5, first 2 shown]
	v_and_b32_e32 v5, 0xffff, v5
	v_lshlrev_b32_e32 v6, 16, v6
	v_and_b32_e32 v7, 0xffff, v7
	v_lshlrev_b32_e32 v14, 16, v8
	;; [unrolled: 2-line block ×4, first 2 shown]
	v_add_co_u32 v1, vcc_lo, v1, v37
	v_add_co_ci_u32_e32 v2, vcc_lo, 0, v2, vcc_lo
	v_and_b32_e32 v0, 3, v0
	v_or_b32_e32 v8, v5, v6
	v_or_b32_e32 v7, v7, v14
	;; [unrolled: 1-line block ×4, first 2 shown]
	s_mov_b32 s0, exec_lo
	global_store_b128 v[1:2], v[5:8], off
	v_cmpx_eq_u32_e32 0, v0
	s_cbranch_execz .LBB1_316
; %bb.315:
	v_add_f32_e32 v0, 0x42fe0000, v11
	v_lshrrev_b32_e32 v1, 2, v38
	s_delay_alu instid0(VALU_DEP_2) | instskip(NEXT) | instid1(VALU_DEP_1)
	v_minmax_f32 v0, v0, 0x437f0000, 0
	v_cvt_i32_f32_e32 v2, v0
	s_delay_alu instid0(VALU_DEP_3)
	v_add_co_u32 v0, vcc_lo, v3, v1
	v_add_co_ci_u32_e32 v1, vcc_lo, 0, v4, vcc_lo
	global_store_b8 v[0:1], v2, off
.LBB1_316:
	s_or_b32 exec_lo, exec_lo, s0
	s_delay_alu instid0(SALU_CYCLE_1)
	s_mov_b32 s0, exec_lo
	v_cmpx_eq_u32_e32 0, v38
	s_cbranch_execz .LBB1_318
; %bb.317:
	v_mov_b32_e32 v0, 0
	global_store_b8 v[3:4], v0, off offset:7
.LBB1_318:
	s_or_b32 exec_lo, exec_lo, s0
                                        ; implicit-def: $vgpr37
                                        ; implicit-def: $vgpr34
                                        ; implicit-def: $vgpr35
                                        ; implicit-def: $vgpr36
                                        ; implicit-def: $vgpr39
                                        ; implicit-def: $vgpr40
                                        ; implicit-def: $vgpr41
                                        ; implicit-def: $vgpr7
                                        ; implicit-def: $vgpr43
                                        ; implicit-def: $vgpr8
                                        ; implicit-def: $vgpr9
                                        ; implicit-def: $vgpr10
                                        ; implicit-def: $vgpr11
                                        ; implicit-def: $vgpr12
                                        ; implicit-def: $vgpr14
                                        ; implicit-def: $vgpr15
                                        ; implicit-def: $vgpr44
                                        ; implicit-def: $vgpr1_vgpr2
.LBB1_319:
	s_and_not1_saveexec_b32 s0, s1
	s_cbranch_execz .LBB1_321
; %bb.320:
	v_lshlrev_b32_e32 v0, 1, v37
	v_perm_b32 v3, v43, v7, 0x5040100
	v_perm_b32 v7, v44, v15, 0x5040100
	;; [unrolled: 1-line block ×4, first 2 shown]
	v_add_co_u32 v16, vcc_lo, v1, v0
	v_add_co_ci_u32_e32 v17, vcc_lo, 0, v2, vcc_lo
	v_perm_b32 v2, v41, v40, 0x5040100
	v_perm_b32 v1, v39, v36, 0x5040100
	;; [unrolled: 1-line block ×4, first 2 shown]
	s_clause 0x1
	global_store_b128 v[16:17], v[0:3], off offset:-448
	global_store_b128 v[16:17], v[4:7], off offset:-432
.LBB1_321:
	s_or_b32 exec_lo, exec_lo, s7
                                        ; implicit-def: $vgpr1_vgpr2_vgpr3_vgpr4_vgpr5_vgpr6_vgpr7_vgpr8_vgpr9_vgpr10_vgpr11_vgpr12_vgpr13_vgpr14_vgpr15_vgpr16
                                        ; implicit-def: $vgpr33
                                        ; implicit-def: $vgpr35
                                        ; implicit-def: $vgpr37
	s_and_not1_saveexec_b32 s0, s6
	s_cbranch_execnz .LBB1_14
	s_branch .LBB1_15
	.section	.rodata,"a",@progbits
	.p2align	6, 0x0
	.amdhsa_kernel _ZN4vllm21deepseek_v4_fused_ops47fusedDeepseekV4QNormRopeKVRopeQuantInsertKernelIN3c104HalfELi16EEEvPKT_PS4_S6_PhPKlSA_PKffiiiii
		.amdhsa_group_segment_fixed_size 0
		.amdhsa_private_segment_fixed_size 0
		.amdhsa_kernarg_size 336
		.amdhsa_user_sgpr_count 15
		.amdhsa_user_sgpr_dispatch_ptr 0
		.amdhsa_user_sgpr_queue_ptr 0
		.amdhsa_user_sgpr_kernarg_segment_ptr 1
		.amdhsa_user_sgpr_dispatch_id 0
		.amdhsa_user_sgpr_private_segment_size 0
		.amdhsa_wavefront_size32 1
		.amdhsa_uses_dynamic_stack 0
		.amdhsa_enable_private_segment 0
		.amdhsa_system_sgpr_workgroup_id_x 1
		.amdhsa_system_sgpr_workgroup_id_y 0
		.amdhsa_system_sgpr_workgroup_id_z 0
		.amdhsa_system_sgpr_workgroup_info 0
		.amdhsa_system_vgpr_workitem_id 0
		.amdhsa_next_free_vgpr 49
		.amdhsa_next_free_sgpr 22
		.amdhsa_reserve_vcc 1
		.amdhsa_float_round_mode_32 0
		.amdhsa_float_round_mode_16_64 0
		.amdhsa_float_denorm_mode_32 3
		.amdhsa_float_denorm_mode_16_64 3
		.amdhsa_dx10_clamp 1
		.amdhsa_ieee_mode 1
		.amdhsa_fp16_overflow 0
		.amdhsa_workgroup_processor_mode 1
		.amdhsa_memory_ordered 1
		.amdhsa_forward_progress 0
		.amdhsa_shared_vgpr_count 0
		.amdhsa_exception_fp_ieee_invalid_op 0
		.amdhsa_exception_fp_denorm_src 0
		.amdhsa_exception_fp_ieee_div_zero 0
		.amdhsa_exception_fp_ieee_overflow 0
		.amdhsa_exception_fp_ieee_underflow 0
		.amdhsa_exception_fp_ieee_inexact 0
		.amdhsa_exception_int_div_zero 0
	.end_amdhsa_kernel
	.section	.text._ZN4vllm21deepseek_v4_fused_ops47fusedDeepseekV4QNormRopeKVRopeQuantInsertKernelIN3c104HalfELi16EEEvPKT_PS4_S6_PhPKlSA_PKffiiiii,"axG",@progbits,_ZN4vllm21deepseek_v4_fused_ops47fusedDeepseekV4QNormRopeKVRopeQuantInsertKernelIN3c104HalfELi16EEEvPKT_PS4_S6_PhPKlSA_PKffiiiii,comdat
.Lfunc_end1:
	.size	_ZN4vllm21deepseek_v4_fused_ops47fusedDeepseekV4QNormRopeKVRopeQuantInsertKernelIN3c104HalfELi16EEEvPKT_PS4_S6_PhPKlSA_PKffiiiii, .Lfunc_end1-_ZN4vllm21deepseek_v4_fused_ops47fusedDeepseekV4QNormRopeKVRopeQuantInsertKernelIN3c104HalfELi16EEEvPKT_PS4_S6_PhPKlSA_PKffiiiii
                                        ; -- End function
	.section	.AMDGPU.csdata,"",@progbits
; Kernel info:
; codeLenInByte = 13992
; NumSgprs: 24
; NumVgprs: 49
; ScratchSize: 0
; MemoryBound: 1
; FloatMode: 240
; IeeeMode: 1
; LDSByteSize: 0 bytes/workgroup (compile time only)
; SGPRBlocks: 2
; VGPRBlocks: 6
; NumSGPRsForWavesPerEU: 24
; NumVGPRsForWavesPerEU: 49
; Occupancy: 16
; WaveLimiterHint : 1
; COMPUTE_PGM_RSRC2:SCRATCH_EN: 0
; COMPUTE_PGM_RSRC2:USER_SGPR: 15
; COMPUTE_PGM_RSRC2:TRAP_HANDLER: 0
; COMPUTE_PGM_RSRC2:TGID_X_EN: 1
; COMPUTE_PGM_RSRC2:TGID_Y_EN: 0
; COMPUTE_PGM_RSRC2:TGID_Z_EN: 0
; COMPUTE_PGM_RSRC2:TIDIG_COMP_CNT: 0
	.section	.text._ZN4vllm21deepseek_v4_fused_ops47fusedDeepseekV4QNormRopeKVRopeQuantInsertKernelIN3c104HalfELi32EEEvPKT_PS4_S6_PhPKlSA_PKffiiiii,"axG",@progbits,_ZN4vllm21deepseek_v4_fused_ops47fusedDeepseekV4QNormRopeKVRopeQuantInsertKernelIN3c104HalfELi32EEEvPKT_PS4_S6_PhPKlSA_PKffiiiii,comdat
	.protected	_ZN4vllm21deepseek_v4_fused_ops47fusedDeepseekV4QNormRopeKVRopeQuantInsertKernelIN3c104HalfELi32EEEvPKT_PS4_S6_PhPKlSA_PKffiiiii ; -- Begin function _ZN4vllm21deepseek_v4_fused_ops47fusedDeepseekV4QNormRopeKVRopeQuantInsertKernelIN3c104HalfELi32EEEvPKT_PS4_S6_PhPKlSA_PKffiiiii
	.globl	_ZN4vllm21deepseek_v4_fused_ops47fusedDeepseekV4QNormRopeKVRopeQuantInsertKernelIN3c104HalfELi32EEEvPKT_PS4_S6_PhPKlSA_PKffiiiii
	.p2align	8
	.type	_ZN4vllm21deepseek_v4_fused_ops47fusedDeepseekV4QNormRopeKVRopeQuantInsertKernelIN3c104HalfELi32EEEvPKT_PS4_S6_PhPKlSA_PKffiiiii,@function
_ZN4vllm21deepseek_v4_fused_ops47fusedDeepseekV4QNormRopeKVRopeQuantInsertKernelIN3c104HalfELi32EEEvPKT_PS4_S6_PhPKlSA_PKffiiiii: ; @_ZN4vllm21deepseek_v4_fused_ops47fusedDeepseekV4QNormRopeKVRopeQuantInsertKernelIN3c104HalfELi32EEEvPKT_PS4_S6_PhPKlSA_PKffiiiii
; %bb.0:
	s_clause 0x1
	s_load_b32 s2, s[0:1], 0x5c
	s_load_b128 s[8:11], s[0:1], 0x38
	v_lshrrev_b32_e32 v3, 5, v0
	s_waitcnt lgkmcnt(0)
	s_bfe_u32 s2, s2, 0xb0005
	s_delay_alu instid0(VALU_DEP_1) | instid1(SALU_CYCLE_1)
	v_mad_u64_u32 v[1:2], null, s15, s2, v[3:4]
	s_mov_b32 s2, exec_lo
	s_delay_alu instid0(VALU_DEP_1) | instskip(NEXT) | instid1(VALU_DEP_1)
	v_mul_hi_i32 v2, 0x3e0f83e1, v1
	v_lshrrev_b32_e32 v3, 31, v2
	v_ashrrev_i32_e32 v2, 3, v2
	s_delay_alu instid0(VALU_DEP_1) | instskip(NEXT) | instid1(VALU_DEP_1)
	v_add_nc_u32_e32 v33, v2, v3
	v_cmpx_gt_i32_e64 s9, v33
	s_cbranch_execz .LBB2_18
; %bb.1:
	s_load_b64 s[14:15], s[0:1], 0x48
	v_lshl_add_u32 v2, v33, 5, v33
	v_cmp_gt_i32_e64 s3, s10, v33
	s_delay_alu instid0(VALU_DEP_2) | instskip(NEXT) | instid1(VALU_DEP_1)
	v_sub_nc_u32_e32 v35, v1, v2
	v_cmp_ne_u32_e64 s2, 32, v35
	v_cmp_eq_u32_e32 vcc_lo, 32, v35
	s_delay_alu instid0(VALU_DEP_2) | instskip(NEXT) | instid1(SALU_CYCLE_1)
	s_or_b32 s3, s2, s3
	s_and_b32 exec_lo, exec_lo, s3
	s_cbranch_execz .LBB2_18
; %bb.2:
	s_clause 0x2
	s_load_b64 s[12:13], s[0:1], 0x8
	s_load_b128 s[4:7], s[0:1], 0x20
	s_load_b64 s[16:17], s[0:1], 0x30
	v_and_b32_e32 v38, 31, v0
	v_cmp_gt_i32_e64 s3, s11, v35
	v_ashrrev_i32_e32 v34, 31, v33
	s_xor_b32 s9, s2, -1
                                        ; implicit-def: $vgpr7
                                        ; implicit-def: $vgpr15
	s_delay_alu instid0(VALU_DEP_3) | instskip(NEXT) | instid1(VALU_DEP_3)
	v_lshlrev_b32_e32 v37, 4, v38
	s_or_b32 s9, s9, s3
	s_delay_alu instid0(SALU_CYCLE_1)
	s_and_saveexec_b32 s10, s9
	s_cbranch_execz .LBB2_8
; %bb.3:
                                        ; implicit-def: $vgpr1_vgpr2
	s_and_saveexec_b32 s3, vcc_lo
	s_delay_alu instid0(SALU_CYCLE_1)
	s_xor_b32 s18, exec_lo, s3
	s_cbranch_execz .LBB2_5
; %bb.4:
	s_load_b64 s[20:21], s[0:1], 0x10
	v_lshlrev_b64 v[1:2], 10, v[33:34]
	v_lshlrev_b32_e32 v3, 1, v37
	s_waitcnt lgkmcnt(0)
	s_delay_alu instid0(VALU_DEP_2) | instskip(NEXT) | instid1(VALU_DEP_1)
	v_add_co_u32 v1, s3, s20, v1
	v_add_co_ci_u32_e64 v2, s3, s21, v2, s3
	s_delay_alu instid0(VALU_DEP_2) | instskip(NEXT) | instid1(VALU_DEP_1)
	v_add_co_u32 v1, s3, v1, v3
	v_add_co_ci_u32_e64 v2, s3, 0, v2, s3
.LBB2_5:
	s_and_not1_saveexec_b32 s18, s18
	s_cbranch_execz .LBB2_7
; %bb.6:
	v_ashrrev_i32_e32 v36, 31, v35
	s_load_b64 s[20:21], s[0:1], 0x0
	s_delay_alu instid0(VALU_DEP_1) | instskip(NEXT) | instid1(VALU_DEP_1)
	v_mad_i64_i32 v[1:2], null, v33, s11, v[35:36]
	v_lshlrev_b64 v[1:2], 10, v[1:2]
	s_delay_alu instid0(VALU_DEP_1) | instskip(SKIP_1) | instid1(VALU_DEP_1)
	v_lshl_or_b32 v1, v37, 1, v1
	s_waitcnt lgkmcnt(0)
	v_add_co_u32 v1, s3, s20, v1
	s_delay_alu instid0(VALU_DEP_1)
	v_add_co_ci_u32_e64 v2, s3, s21, v2, s3
.LBB2_7:
	s_or_b32 exec_lo, exec_lo, s18
	s_clause 0x1
	global_load_b128 v[12:15], v[1:2], off offset:16
	global_load_b128 v[4:7], v[1:2], off
.LBB2_8:
	s_or_b32 exec_lo, exec_lo, s10
	s_load_b64 s[10:11], s[0:1], 0x18
	s_and_saveexec_b32 s0, s9
	s_delay_alu instid0(SALU_CYCLE_1)
	s_xor_b32 s9, exec_lo, s0
	s_cbranch_execz .LBB2_16
; %bb.9:
	s_waitcnt vmcnt(0)
	v_lshrrev_b32_e32 v8, 16, v5
	v_lshrrev_b32_e32 v9, 16, v6
	;; [unrolled: 1-line block ×3, first 2 shown]
	v_cvt_f32_f16_e32 v1, v4
	v_cvt_f32_f16_e32 v3, v5
	;; [unrolled: 1-line block ×3, first 2 shown]
	v_lshrrev_b32_e32 v8, 16, v7
	v_cvt_f32_f16_e32 v5, v6
	v_cvt_f32_f16_e32 v6, v9
	v_lshrrev_b32_e32 v10, 16, v12
	v_cvt_f32_f16_e32 v9, v12
	v_lshrrev_b32_e32 v12, 16, v13
	v_lshrrev_b32_e32 v16, 16, v14
	;; [unrolled: 1-line block ×3, first 2 shown]
	v_cvt_f32_f16_e32 v2, v2
	v_cvt_f32_f16_e32 v7, v7
	;; [unrolled: 1-line block ×10, first 2 shown]
	s_and_saveexec_b32 s1, s2
	s_cbranch_execz .LBB2_11
; %bb.10:
	v_mbcnt_lo_u32_b32 v18, -1, 0
	s_delay_alu instid0(VALU_DEP_1) | instskip(SKIP_1) | instid1(VALU_DEP_2)
	v_xor_b32_e32 v19, 16, v18
	v_xor_b32_e32 v20, 8, v18
	v_cmp_gt_i32_e64 s0, 32, v19
	s_delay_alu instid0(VALU_DEP_1) | instskip(NEXT) | instid1(VALU_DEP_3)
	v_cndmask_b32_e64 v19, v18, v19, s0
	v_cmp_gt_i32_e64 s0, 32, v20
	s_delay_alu instid0(VALU_DEP_2) | instskip(NEXT) | instid1(VALU_DEP_2)
	v_lshlrev_b32_e32 v19, 2, v19
	v_cndmask_b32_e64 v20, v18, v20, s0
	s_delay_alu instid0(VALU_DEP_1) | instskip(NEXT) | instid1(VALU_DEP_1)
	v_dual_mul_f32 v17, v2, v2 :: v_dual_lshlrev_b32 v20, 2, v20
	v_fmac_f32_e32 v17, v1, v1
	s_delay_alu instid0(VALU_DEP_1) | instskip(NEXT) | instid1(VALU_DEP_1)
	v_fmac_f32_e32 v17, v3, v3
	v_fmac_f32_e32 v17, v4, v4
	s_delay_alu instid0(VALU_DEP_1) | instskip(NEXT) | instid1(VALU_DEP_1)
	v_fmac_f32_e32 v17, v5, v5
	;; [unrolled: 3-line block ×7, first 2 shown]
	v_fmac_f32_e32 v17, v16, v16
	ds_bpermute_b32 v19, v19, v17
	s_waitcnt lgkmcnt(0)
	v_add_f32_e32 v17, v17, v19
	ds_bpermute_b32 v19, v20, v17
	v_xor_b32_e32 v20, 4, v18
	s_delay_alu instid0(VALU_DEP_1) | instskip(NEXT) | instid1(VALU_DEP_1)
	v_cmp_gt_i32_e64 s0, 32, v20
	v_cndmask_b32_e64 v20, v18, v20, s0
	s_waitcnt lgkmcnt(0)
	s_delay_alu instid0(VALU_DEP_1) | instskip(SKIP_2) | instid1(VALU_DEP_1)
	v_dual_add_f32 v17, v17, v19 :: v_dual_lshlrev_b32 v20, 2, v20
	ds_bpermute_b32 v19, v20, v17
	v_xor_b32_e32 v20, 2, v18
	v_cmp_gt_i32_e64 s0, 32, v20
	s_delay_alu instid0(VALU_DEP_1) | instskip(SKIP_1) | instid1(VALU_DEP_1)
	v_cndmask_b32_e64 v20, v18, v20, s0
	s_waitcnt lgkmcnt(0)
	v_dual_add_f32 v17, v17, v19 :: v_dual_lshlrev_b32 v20, 2, v20
	ds_bpermute_b32 v19, v20, v17
	v_xor_b32_e32 v20, 1, v18
	s_delay_alu instid0(VALU_DEP_1) | instskip(NEXT) | instid1(VALU_DEP_1)
	v_cmp_gt_i32_e64 s0, 32, v20
	v_cndmask_b32_e64 v18, v18, v20, s0
	s_waitcnt lgkmcnt(0)
	s_delay_alu instid0(VALU_DEP_1) | instskip(SKIP_4) | instid1(VALU_DEP_1)
	v_dual_add_f32 v17, v17, v19 :: v_dual_lshlrev_b32 v18, 2, v18
	v_mov_b32_e32 v19, s8
	ds_bpermute_b32 v18, v18, v17
	s_waitcnt lgkmcnt(0)
	v_add_f32_e32 v17, v17, v18
	v_fmamk_f32 v17, v17, 0x3b000000, v19
	s_delay_alu instid0(VALU_DEP_1) | instskip(SKIP_1) | instid1(VALU_DEP_1)
	v_mul_f32_e32 v18, 0x4b800000, v17
	v_cmp_gt_f32_e64 s0, 0x800000, v17
	v_cndmask_b32_e64 v17, v17, v18, s0
	s_delay_alu instid0(VALU_DEP_1) | instskip(SKIP_2) | instid1(VALU_DEP_1)
	v_rsq_f32_e32 v17, v17
	s_waitcnt_depctr 0xfff
	v_mul_f32_e32 v18, 0x45800000, v17
	v_cndmask_b32_e64 v17, v17, v18, s0
	s_delay_alu instid0(VALU_DEP_1)
	v_mul_f32_e32 v1, v17, v1
	v_mul_f32_e32 v2, v17, v2
	v_mul_f32_e32 v3, v17, v3
	v_mul_f32_e32 v4, v17, v4
	v_mul_f32_e32 v5, v17, v5
	v_mul_f32_e32 v6, v17, v6
	v_mul_f32_e32 v7, v17, v7
	v_mul_f32_e32 v8, v17, v8
	v_mul_f32_e32 v9, v17, v9
	v_mul_f32_e32 v10, v17, v10
	v_mul_f32_e32 v11, v17, v11
	v_mul_f32_e32 v12, v17, v12
	v_mul_f32_e32 v13, v17, v13
	v_mul_f32_e32 v14, v17, v14
	v_mul_f32_e32 v15, v17, v15
	v_mul_f32_e32 v16, v17, v16
.LBB2_11:
	s_or_b32 exec_lo, exec_lo, s1
	v_cmp_gt_u32_e64 s0, 28, v38
	s_mov_b32 s2, exec_lo
	v_cmpx_lt_u32_e32 27, v38
	s_cbranch_execz .LBB2_19
; %bb.12:
	v_lshlrev_b64 v[17:18], 3, v[33:34]
	v_dual_mov_b32 v20, 0 :: v_dual_add_nc_u32 v19, 0xfffffe40, v37
	s_delay_alu instid0(VALU_DEP_1) | instskip(SKIP_1) | instid1(VALU_DEP_3)
	v_lshrrev_b32_e32 v19, 1, v19
	s_waitcnt lgkmcnt(0)
	v_add_co_u32 v17, s1, s6, v17
	s_delay_alu instid0(VALU_DEP_1) | instskip(NEXT) | instid1(VALU_DEP_3)
	v_add_co_ci_u32_e64 v18, s1, s7, v18, s1
	v_lshlrev_b64 v[19:20], 2, v[19:20]
	global_load_b64 v[17:18], v[17:18], off
	s_waitcnt vmcnt(0)
	v_lshlrev_b64 v[17:18], 8, v[17:18]
	s_delay_alu instid0(VALU_DEP_1) | instskip(NEXT) | instid1(VALU_DEP_1)
	v_add_co_u32 v17, s1, s16, v17
	v_add_co_ci_u32_e64 v18, s1, s17, v18, s1
	s_delay_alu instid0(VALU_DEP_2) | instskip(NEXT) | instid1(VALU_DEP_1)
	v_add_co_u32 v17, s1, v17, v19
	v_add_co_ci_u32_e64 v18, s1, v18, v20, s1
	s_clause 0x3
	global_load_b128 v[20:23], v[17:18], off offset:128
	global_load_b128 v[28:31], v[17:18], off offset:144
	global_load_b128 v[39:42], v[17:18], off
	global_load_b128 v[43:46], v[17:18], off offset:16
	s_waitcnt vmcnt(3)
	v_mul_f32_e32 v17, v2, v20
	v_dual_mul_f32 v18, v1, v20 :: v_dual_mul_f32 v19, v4, v21
	v_dual_mul_f32 v20, v3, v21 :: v_dual_mul_f32 v21, v6, v22
	v_mul_f32_e32 v24, v7, v23
	v_dual_mul_f32 v22, v5, v22 :: v_dual_mul_f32 v25, v8, v23
	s_waitcnt vmcnt(2)
	v_dual_mul_f32 v27, v10, v28 :: v_dual_mul_f32 v36, v12, v29
	v_mul_f32_e32 v26, v9, v28
	v_dual_mul_f32 v28, v11, v29 :: v_dual_mul_f32 v47, v16, v31
	v_mul_f32_e32 v29, v14, v30
	v_mul_f32_e32 v30, v13, v30
	v_mul_f32_e32 v32, v15, v31
	s_waitcnt vmcnt(1)
	v_fma_f32 v17, v1, v39, -v17
	v_fmac_f32_e32 v18, v2, v39
	v_fma_f32 v19, v3, v40, -v19
	v_fmac_f32_e32 v20, v4, v40
	v_fma_f32 v21, v5, v41, -v21
	v_fmac_f32_e32 v22, v6, v41
	v_fma_f32 v23, v7, v42, -v25
	v_fmac_f32_e32 v24, v8, v42
	s_waitcnt vmcnt(0)
	v_fma_f32 v25, v9, v43, -v27
	v_fmac_f32_e32 v26, v10, v43
	v_fma_f32 v27, v11, v44, -v36
	v_fmac_f32_e32 v28, v12, v44
	;; [unrolled: 2-line block ×4, first 2 shown]
	v_dual_mov_b32 v1, v17 :: v_dual_mov_b32 v2, v18
	v_dual_mov_b32 v3, v19 :: v_dual_mov_b32 v4, v20
	;; [unrolled: 1-line block ×8, first 2 shown]
	s_or_b32 exec_lo, exec_lo, s2
	s_and_saveexec_b32 s1, vcc_lo
	s_delay_alu instid0(SALU_CYCLE_1)
	s_xor_b32 s6, exec_lo, s1
	s_cbranch_execnz .LBB2_20
.LBB2_13:
	s_and_not1_saveexec_b32 s0, s6
	s_cbranch_execz .LBB2_15
.LBB2_14:
	v_cvt_f16_f32_e32 v17, v1
	v_ashrrev_i32_e32 v36, 31, v35
	v_lshlrev_b64 v[0:1], 15, v[33:34]
	s_waitcnt lgkmcnt(0)
	v_cvt_f16_f32_e32 v18, v2
	v_cvt_f16_f32_e32 v19, v3
	;; [unrolled: 1-line block ×3, first 2 shown]
	v_lshlrev_b64 v[2:3], 10, v[35:36]
	v_lshlrev_b32_e32 v8, 1, v37
	v_add_co_u32 v0, vcc_lo, s12, v0
	v_add_co_ci_u32_e32 v1, vcc_lo, s13, v1, vcc_lo
	v_cvt_f16_f32_e32 v4, v4
	s_delay_alu instid0(VALU_DEP_3)
	v_add_co_u32 v0, vcc_lo, v0, v2
	v_cvt_f16_f32_e32 v5, v5
	v_cvt_f16_f32_e32 v6, v6
	;; [unrolled: 1-line block ×3, first 2 shown]
	v_add_co_ci_u32_e32 v1, vcc_lo, v1, v3, vcc_lo
	v_cvt_f16_f32_e32 v21, v9
	v_cvt_f16_f32_e32 v10, v10
	;; [unrolled: 1-line block ×8, first 2 shown]
	v_add_co_u32 v8, vcc_lo, v0, v8
	v_add_co_ci_u32_e32 v9, vcc_lo, 0, v1, vcc_lo
	v_pack_b32_f16 v3, v7, v20
	v_pack_b32_f16 v2, v5, v6
	;; [unrolled: 1-line block ×8, first 2 shown]
	s_clause 0x1
	global_store_b128 v[8:9], v[0:3], off
	global_store_b128 v[8:9], v[4:7], off offset:16
.LBB2_15:
	s_or_b32 exec_lo, exec_lo, s0
                                        ; implicit-def: $vgpr33
                                        ; implicit-def: $vgpr35
                                        ; implicit-def: $vgpr37
.LBB2_16:
	s_and_not1_saveexec_b32 s0, s9
	s_cbranch_execz .LBB2_18
; %bb.17:
	v_ashrrev_i32_e32 v36, 31, v35
	v_lshlrev_b64 v[0:1], 15, v[33:34]
	s_mov_b32 s0, 0
	s_delay_alu instid0(SALU_CYCLE_1) | instskip(NEXT) | instid1(VALU_DEP_2)
	s_mov_b32 s1, s0
	v_lshlrev_b64 v[2:3], 10, v[35:36]
	s_mov_b32 s2, s0
	s_waitcnt lgkmcnt(0)
	v_add_co_u32 v0, vcc_lo, s12, v0
	v_add_co_ci_u32_e32 v1, vcc_lo, s13, v1, vcc_lo
	s_mov_b32 s3, s0
	s_waitcnt vmcnt(0)
	v_lshlrev_b32_e32 v4, 1, v37
	v_add_co_u32 v5, vcc_lo, v0, v2
	v_add_co_ci_u32_e32 v6, vcc_lo, v1, v3, vcc_lo
	v_dual_mov_b32 v0, s0 :: v_dual_mov_b32 v3, s3
	v_mov_b32_e32 v1, s1
	s_delay_alu instid0(VALU_DEP_4)
	v_add_co_u32 v4, vcc_lo, v5, v4
	v_mov_b32_e32 v2, s2
	v_add_co_ci_u32_e32 v5, vcc_lo, 0, v6, vcc_lo
	s_clause 0x1
	global_store_b128 v[4:5], v[0:3], off
	global_store_b128 v[4:5], v[0:3], off offset:16
.LBB2_18:
	s_nop 0
	s_sendmsg sendmsg(MSG_DEALLOC_VGPRS)
	s_endpgm
.LBB2_19:
	s_or_b32 exec_lo, exec_lo, s2
	s_and_saveexec_b32 s1, vcc_lo
	s_waitcnt lgkmcnt(0)
	s_xor_b32 s6, exec_lo, s1
	s_cbranch_execz .LBB2_13
.LBB2_20:
	v_lshlrev_b64 v[17:18], 3, v[33:34]
	s_mov_b32 s7, exec_lo
	s_delay_alu instid0(VALU_DEP_1) | instskip(NEXT) | instid1(VALU_DEP_2)
	v_add_co_u32 v17, vcc_lo, s4, v17
	v_add_co_ci_u32_e32 v18, vcc_lo, s5, v18, vcc_lo
	global_load_b64 v[17:18], v[17:18], off
	s_waitcnt vmcnt(0)
	v_cmpx_lt_i64_e32 -1, v[17:18]
                                        ; implicit-def: $vgpr34
	s_cbranch_execz .LBB2_321
; %bb.21:
	s_ashr_i32 s16, s14, 31
	v_mov_b32_e32 v19, 0
	v_or_b32_e32 v20, s16, v18
	s_mov_b32 s8, s14
	s_delay_alu instid0(VALU_DEP_1) | instskip(SKIP_1) | instid1(SALU_CYCLE_1)
	v_cmp_ne_u64_e32 vcc_lo, 0, v[19:20]
                                        ; implicit-def: $vgpr19_vgpr20
	s_and_saveexec_b32 s1, vcc_lo
	s_xor_b32 s14, exec_lo, s1
	s_cbranch_execz .LBB2_23
; %bb.22:
	s_add_u32 s4, s8, s16
	s_mov_b32 s2, s16
	s_mov_b32 s3, s16
	s_addc_u32 s5, s16, s16
	s_delay_alu instid0(SALU_CYCLE_1) | instskip(NEXT) | instid1(SALU_CYCLE_1)
	s_xor_b64 s[4:5], s[4:5], s[2:3]
	v_cvt_f32_u32_e32 v19, s4
	v_cvt_f32_u32_e32 v20, s5
	s_sub_u32 s1, 0, s4
	s_subb_u32 s17, 0, s5
	s_delay_alu instid0(VALU_DEP_1) | instskip(NEXT) | instid1(VALU_DEP_1)
	v_fmamk_f32 v19, v20, 0x4f800000, v19
	v_rcp_f32_e32 v19, v19
	s_waitcnt_depctr 0xfff
	v_mul_f32_e32 v19, 0x5f7ffffc, v19
	s_delay_alu instid0(VALU_DEP_1) | instskip(NEXT) | instid1(VALU_DEP_1)
	v_mul_f32_e32 v20, 0x2f800000, v19
	v_trunc_f32_e32 v20, v20
	s_delay_alu instid0(VALU_DEP_1) | instskip(SKIP_1) | instid1(VALU_DEP_2)
	v_fmamk_f32 v19, v20, 0xcf800000, v19
	v_cvt_u32_f32_e32 v20, v20
	v_cvt_u32_f32_e32 v19, v19
	s_delay_alu instid0(VALU_DEP_2) | instskip(NEXT) | instid1(VALU_DEP_2)
	v_mul_lo_u32 v21, s1, v20
	v_mul_hi_u32 v22, s1, v19
	v_mul_lo_u32 v23, s17, v19
	s_delay_alu instid0(VALU_DEP_2) | instskip(SKIP_1) | instid1(VALU_DEP_2)
	v_add_nc_u32_e32 v21, v22, v21
	v_mul_lo_u32 v22, s1, v19
	v_add_nc_u32_e32 v21, v21, v23
	s_delay_alu instid0(VALU_DEP_2) | instskip(NEXT) | instid1(VALU_DEP_2)
	v_mul_hi_u32 v23, v19, v22
	v_mul_lo_u32 v24, v19, v21
	v_mul_hi_u32 v25, v19, v21
	v_mul_hi_u32 v26, v20, v22
	v_mul_lo_u32 v22, v20, v22
	v_mul_hi_u32 v27, v20, v21
	v_mul_lo_u32 v21, v20, v21
	v_add_co_u32 v23, vcc_lo, v23, v24
	v_add_co_ci_u32_e32 v24, vcc_lo, 0, v25, vcc_lo
	s_delay_alu instid0(VALU_DEP_2) | instskip(NEXT) | instid1(VALU_DEP_2)
	v_add_co_u32 v22, vcc_lo, v23, v22
	v_add_co_ci_u32_e32 v22, vcc_lo, v24, v26, vcc_lo
	v_add_co_ci_u32_e32 v23, vcc_lo, 0, v27, vcc_lo
	v_ashrrev_i32_e32 v26, 31, v18
	s_delay_alu instid0(VALU_DEP_3) | instskip(NEXT) | instid1(VALU_DEP_3)
	v_add_co_u32 v21, vcc_lo, v22, v21
	v_add_co_ci_u32_e32 v22, vcc_lo, 0, v23, vcc_lo
	s_delay_alu instid0(VALU_DEP_2) | instskip(NEXT) | instid1(VALU_DEP_2)
	v_add_co_u32 v19, vcc_lo, v19, v21
	v_add_co_ci_u32_e32 v20, vcc_lo, v20, v22, vcc_lo
	s_delay_alu instid0(VALU_DEP_2) | instskip(SKIP_1) | instid1(VALU_DEP_3)
	v_mul_hi_u32 v21, s1, v19
	v_mul_lo_u32 v23, s17, v19
	v_mul_lo_u32 v22, s1, v20
	s_delay_alu instid0(VALU_DEP_1) | instskip(SKIP_1) | instid1(VALU_DEP_2)
	v_add_nc_u32_e32 v21, v21, v22
	v_mul_lo_u32 v22, s1, v19
	v_add_nc_u32_e32 v21, v21, v23
	s_delay_alu instid0(VALU_DEP_2) | instskip(NEXT) | instid1(VALU_DEP_2)
	v_mul_hi_u32 v23, v19, v22
	v_mul_lo_u32 v24, v19, v21
	v_mul_hi_u32 v25, v19, v21
	v_mul_hi_u32 v27, v20, v22
	v_mul_lo_u32 v22, v20, v22
	v_mul_hi_u32 v28, v20, v21
	v_mul_lo_u32 v21, v20, v21
	v_add_co_u32 v23, vcc_lo, v23, v24
	v_add_co_ci_u32_e32 v24, vcc_lo, 0, v25, vcc_lo
	s_delay_alu instid0(VALU_DEP_2) | instskip(NEXT) | instid1(VALU_DEP_2)
	v_add_co_u32 v22, vcc_lo, v23, v22
	v_add_co_ci_u32_e32 v22, vcc_lo, v24, v27, vcc_lo
	v_add_co_ci_u32_e32 v23, vcc_lo, 0, v28, vcc_lo
	v_add_co_u32 v24, vcc_lo, v17, v26
	v_add_co_ci_u32_e32 v25, vcc_lo, v18, v26, vcc_lo
	s_delay_alu instid0(VALU_DEP_4) | instskip(NEXT) | instid1(VALU_DEP_4)
	v_add_co_u32 v21, vcc_lo, v22, v21
	v_add_co_ci_u32_e32 v22, vcc_lo, 0, v23, vcc_lo
	s_delay_alu instid0(VALU_DEP_4) | instskip(NEXT) | instid1(VALU_DEP_3)
	v_xor_b32_e32 v27, v24, v26
	v_add_co_u32 v23, vcc_lo, v19, v21
	s_delay_alu instid0(VALU_DEP_3) | instskip(SKIP_1) | instid1(VALU_DEP_3)
	v_add_co_ci_u32_e32 v28, vcc_lo, v20, v22, vcc_lo
	v_xor_b32_e32 v25, v25, v26
	v_mul_hi_u32 v29, v27, v23
	s_delay_alu instid0(VALU_DEP_3) | instskip(NEXT) | instid1(VALU_DEP_3)
	v_mad_u64_u32 v[19:20], null, v27, v28, 0
	v_mad_u64_u32 v[21:22], null, v25, v23, 0
	;; [unrolled: 1-line block ×3, first 2 shown]
	s_delay_alu instid0(VALU_DEP_3) | instskip(NEXT) | instid1(VALU_DEP_4)
	v_add_co_u32 v19, vcc_lo, v29, v19
	v_add_co_ci_u32_e32 v20, vcc_lo, 0, v20, vcc_lo
	s_delay_alu instid0(VALU_DEP_2) | instskip(NEXT) | instid1(VALU_DEP_2)
	v_add_co_u32 v19, vcc_lo, v19, v21
	v_add_co_ci_u32_e32 v19, vcc_lo, v20, v22, vcc_lo
	v_add_co_ci_u32_e32 v20, vcc_lo, 0, v24, vcc_lo
	s_delay_alu instid0(VALU_DEP_2) | instskip(NEXT) | instid1(VALU_DEP_2)
	v_add_co_u32 v21, vcc_lo, v19, v23
	v_add_co_ci_u32_e32 v22, vcc_lo, 0, v20, vcc_lo
	s_delay_alu instid0(VALU_DEP_2) | instskip(SKIP_1) | instid1(VALU_DEP_3)
	v_mul_lo_u32 v23, s5, v21
	v_mad_u64_u32 v[19:20], null, s4, v21, 0
	v_mul_lo_u32 v24, s4, v22
	s_delay_alu instid0(VALU_DEP_2) | instskip(NEXT) | instid1(VALU_DEP_2)
	v_sub_co_u32 v19, vcc_lo, v27, v19
	v_add3_u32 v20, v20, v24, v23
	s_delay_alu instid0(VALU_DEP_1) | instskip(NEXT) | instid1(VALU_DEP_1)
	v_sub_nc_u32_e32 v23, v25, v20
	v_subrev_co_ci_u32_e64 v23, s1, s5, v23, vcc_lo
	v_add_co_u32 v24, s1, v21, 2
	s_delay_alu instid0(VALU_DEP_1) | instskip(SKIP_3) | instid1(VALU_DEP_3)
	v_add_co_ci_u32_e64 v27, s1, 0, v22, s1
	v_sub_co_u32 v28, s1, v19, s4
	v_sub_co_ci_u32_e32 v20, vcc_lo, v25, v20, vcc_lo
	v_subrev_co_ci_u32_e64 v23, s1, 0, v23, s1
	v_cmp_le_u32_e32 vcc_lo, s4, v28
	s_delay_alu instid0(VALU_DEP_3) | instskip(SKIP_1) | instid1(VALU_DEP_4)
	v_cmp_eq_u32_e64 s1, s5, v20
	v_cndmask_b32_e64 v25, 0, -1, vcc_lo
	v_cmp_le_u32_e32 vcc_lo, s5, v23
	v_cndmask_b32_e64 v28, 0, -1, vcc_lo
	v_cmp_le_u32_e32 vcc_lo, s4, v19
	v_cndmask_b32_e64 v19, 0, -1, vcc_lo
	v_cmp_le_u32_e32 vcc_lo, s5, v20
	v_cndmask_b32_e64 v29, 0, -1, vcc_lo
	v_cmp_eq_u32_e32 vcc_lo, s5, v23
	s_delay_alu instid0(VALU_DEP_2) | instskip(SKIP_3) | instid1(VALU_DEP_3)
	v_cndmask_b32_e64 v19, v29, v19, s1
	v_cndmask_b32_e32 v23, v28, v25, vcc_lo
	v_add_co_u32 v25, vcc_lo, v21, 1
	v_add_co_ci_u32_e32 v28, vcc_lo, 0, v22, vcc_lo
	v_cmp_ne_u32_e32 vcc_lo, 0, v23
	s_delay_alu instid0(VALU_DEP_2) | instskip(SKIP_2) | instid1(VALU_DEP_3)
	v_dual_cndmask_b32 v20, v28, v27 :: v_dual_cndmask_b32 v23, v25, v24
	v_cmp_ne_u32_e32 vcc_lo, 0, v19
	v_xor_b32_e32 v19, s2, v26
	v_dual_cndmask_b32 v21, v21, v23 :: v_dual_cndmask_b32 v20, v22, v20
	v_xor_b32_e32 v22, s3, v26
	s_delay_alu instid0(VALU_DEP_2) | instskip(NEXT) | instid1(VALU_DEP_2)
	v_xor_b32_e32 v21, v21, v19
	v_xor_b32_e32 v20, v20, v22
	s_delay_alu instid0(VALU_DEP_2) | instskip(NEXT) | instid1(VALU_DEP_2)
	v_sub_co_u32 v19, vcc_lo, v21, v19
	v_sub_co_ci_u32_e32 v20, vcc_lo, v20, v22, vcc_lo
.LBB2_23:
	s_and_not1_saveexec_b32 s1, s14
	s_cbranch_execz .LBB2_25
; %bb.24:
	v_cvt_f32_u32_e32 v19, s8
	s_sub_i32 s2, 0, s8
	s_delay_alu instid0(VALU_DEP_1) | instskip(SKIP_2) | instid1(VALU_DEP_1)
	v_rcp_iflag_f32_e32 v19, v19
	s_waitcnt_depctr 0xfff
	v_mul_f32_e32 v19, 0x4f7ffffe, v19
	v_cvt_u32_f32_e32 v19, v19
	s_delay_alu instid0(VALU_DEP_1) | instskip(NEXT) | instid1(VALU_DEP_1)
	v_mul_lo_u32 v20, s2, v19
	v_mul_hi_u32 v20, v19, v20
	s_delay_alu instid0(VALU_DEP_1) | instskip(NEXT) | instid1(VALU_DEP_1)
	v_add_nc_u32_e32 v19, v19, v20
	v_mul_hi_u32 v19, v17, v19
	s_delay_alu instid0(VALU_DEP_1) | instskip(SKIP_1) | instid1(VALU_DEP_2)
	v_mul_lo_u32 v20, v19, s8
	v_add_nc_u32_e32 v21, 1, v19
	v_sub_nc_u32_e32 v20, v17, v20
	s_delay_alu instid0(VALU_DEP_1) | instskip(SKIP_1) | instid1(VALU_DEP_2)
	v_subrev_nc_u32_e32 v22, s8, v20
	v_cmp_le_u32_e32 vcc_lo, s8, v20
	v_dual_cndmask_b32 v20, v20, v22 :: v_dual_cndmask_b32 v19, v19, v21
	s_delay_alu instid0(VALU_DEP_1) | instskip(NEXT) | instid1(VALU_DEP_2)
	v_cmp_le_u32_e32 vcc_lo, s8, v20
	v_dual_mov_b32 v20, 0 :: v_dual_add_nc_u32 v21, 1, v19
	s_delay_alu instid0(VALU_DEP_1)
	v_cndmask_b32_e32 v19, v19, v21, vcc_lo
.LBB2_25:
	s_or_b32 exec_lo, exec_lo, s1
	v_cvt_f16_f32_e32 v34, v1
	v_cvt_f16_f32_e32 v35, v2
	;; [unrolled: 1-line block ×5, first 2 shown]
	v_cvt_f32_f16_e32 v42, v34
	v_cvt_f32_f16_e32 v33, v35
	v_cvt_f32_f16_e32 v32, v36
	v_cvt_f32_f16_e32 v31, v39
	v_cvt_f16_f32_e32 v41, v6
	v_cvt_f32_f16_e32 v30, v40
	v_max3_f32 v1, |v42|, 0, |v33|
	v_cvt_f16_f32_e32 v7, v7
	v_cvt_f16_f32_e32 v43, v8
	v_cvt_f32_f16_e32 v29, v41
	v_cvt_f16_f32_e32 v8, v9
	v_max3_f32 v1, v1, |v32|, |v31|
	v_cvt_f32_f16_e32 v25, v7
	v_cvt_f32_f16_e32 v27, v43
	v_cvt_f16_f32_e32 v9, v10
	v_cvt_f32_f16_e32 v28, v8
	v_max3_f32 v1, v1, |v30|, |v29|
	v_cvt_f16_f32_e32 v10, v11
	v_cvt_f16_f32_e32 v11, v12
	v_cvt_f32_f16_e32 v26, v9
	v_mbcnt_lo_u32_b32 v5, -1, 0
	v_max3_f32 v1, v1, |v25|, |v27|
	v_cvt_f16_f32_e32 v12, v13
	v_cvt_f32_f16_e32 v24, v10
	v_cvt_f32_f16_e32 v23, v11
	v_cvt_f16_f32_e32 v14, v14
	v_max3_f32 v1, v1, |v28|, |v26|
	v_xor_b32_e32 v2, 1, v5
	v_cvt_f32_f16_e32 v22, v12
	v_cvt_f16_f32_e32 v15, v15
	v_cvt_f16_f32_e32 v44, v16
	v_cvt_f32_f16_e32 v21, v14
	v_max3_f32 v1, v1, |v24|, |v23|
	v_cmp_gt_i32_e32 vcc_lo, 32, v2
	v_cvt_f32_f16_e32 v16, v15
	v_cvt_f32_f16_e32 v13, v44
	v_xor_b32_e32 v48, 2, v5
	v_max3_f32 v1, v1, |v22|, |v21|
	v_cndmask_b32_e32 v2, v5, v2, vcc_lo
	s_ashr_i32 s1, s15, 31
	v_mul_lo_u32 v6, v20, s8
	v_cmp_gt_i32_e32 vcc_lo, 32, v48
	v_max3_f32 v45, v1, |v16|, |v13|
	v_lshlrev_b32_e32 v2, 2, v2
	v_mul_lo_u32 v46, v19, s16
	v_mad_u64_u32 v[3:4], null, v19, s15, s[10:11]
	v_mul_lo_u32 v20, v20, s15
	ds_bpermute_b32 v47, v2, v45
	v_mad_u64_u32 v[1:2], null, v19, s8, 0
	v_mul_lo_u32 v19, v19, s1
	s_delay_alu instid0(VALU_DEP_2) | instskip(NEXT) | instid1(VALU_DEP_2)
	v_add3_u32 v2, v2, v46, v6
	v_add3_u32 v4, v20, v4, v19
	v_cndmask_b32_e32 v19, v5, v48, vcc_lo
	v_sub_co_u32 v5, vcc_lo, v17, v1
	s_delay_alu instid0(VALU_DEP_4) | instskip(NEXT) | instid1(VALU_DEP_3)
	v_sub_co_ci_u32_e32 v6, vcc_lo, v18, v2, vcc_lo
	v_lshlrev_b32_e32 v18, 2, v19
	s_delay_alu instid0(VALU_DEP_3) | instskip(SKIP_2) | instid1(VALU_DEP_1)
	v_mad_u64_u32 v[1:2], null, 0x240, v5, v[3:4]
	s_waitcnt lgkmcnt(0)
	v_max_f32_e32 v17, v47, v47
	v_max_f32_e32 v17, v45, v17
	s_delay_alu instid0(VALU_DEP_3) | instskip(SKIP_3) | instid1(SALU_CYCLE_1)
	v_mad_u64_u32 v[19:20], null, 0x240, v6, v[2:3]
	ds_bpermute_b32 v18, v18, v17
	v_mov_b32_e32 v2, v19
	s_and_saveexec_b32 s1, s0
	s_xor_b32 s1, exec_lo, s1
	s_cbranch_execz .LBB2_319
; %bb.26:
	s_waitcnt lgkmcnt(0)
	v_max3_f32 v7, v17, v18, 0x38d1b717
	s_mov_b32 s0, 0xc3e00000
	s_delay_alu instid0(VALU_DEP_1) | instskip(SKIP_1) | instid1(VALU_DEP_2)
	v_div_scale_f32 v8, null, 0x43e00000, 0x43e00000, v7
	v_div_scale_f32 v11, vcc_lo, v7, 0x43e00000, v7
	v_rcp_f32_e32 v9, v8
	s_waitcnt_depctr 0xfff
	v_fma_f32 v10, -v8, v9, 1.0
	s_delay_alu instid0(VALU_DEP_1) | instskip(NEXT) | instid1(VALU_DEP_1)
	v_fmac_f32_e32 v9, v10, v9
	v_mul_f32_e32 v10, v11, v9
	s_delay_alu instid0(VALU_DEP_1) | instskip(NEXT) | instid1(VALU_DEP_1)
	v_fma_f32 v12, -v8, v10, v11
	v_fmac_f32_e32 v10, v12, v9
	s_delay_alu instid0(VALU_DEP_1) | instskip(NEXT) | instid1(VALU_DEP_1)
	v_fma_f32 v8, -v8, v10, v11
	v_div_fmas_f32 v8, v8, v9, v10
	s_delay_alu instid0(VALU_DEP_1) | instskip(NEXT) | instid1(VALU_DEP_1)
	v_div_fixup_f32 v7, v8, 0x43e00000, v7
	v_cmp_gt_f32_e32 vcc_lo, 0x800000, v7
	v_cndmask_b32_e64 v8, 1.0, 0x4f800000, vcc_lo
	s_delay_alu instid0(VALU_DEP_1) | instskip(SKIP_1) | instid1(VALU_DEP_2)
	v_mul_f32_e32 v7, v7, v8
	v_cndmask_b32_e64 v8, 0, 0x42000000, vcc_lo
	v_log_f32_e32 v7, v7
	s_waitcnt_depctr 0xfff
	v_sub_f32_e32 v7, v7, v8
	s_delay_alu instid0(VALU_DEP_1) | instskip(NEXT) | instid1(VALU_DEP_1)
	v_ceil_f32_e32 v11, v7
	v_cmp_lt_f32_e32 vcc_lo, 0x42fc0000, v11
	v_cndmask_b32_e64 v7, 0, 0x42800000, vcc_lo
	v_cndmask_b32_e64 v8, 1.0, 0x1f800000, vcc_lo
	s_delay_alu instid0(VALU_DEP_2) | instskip(NEXT) | instid1(VALU_DEP_1)
	v_sub_f32_e32 v7, v7, v11
	v_exp_f32_e32 v7, v7
	s_waitcnt_depctr 0xfff
	v_mul_f32_e32 v14, v7, v8
	s_delay_alu instid0(VALU_DEP_1) | instskip(NEXT) | instid1(VALU_DEP_1)
	v_dual_mov_b32 v8, 0 :: v_dual_mul_f32 v7, v14, v42
	v_mov_b32_e32 v18, v8
	s_delay_alu instid0(VALU_DEP_2) | instskip(SKIP_1) | instid1(VALU_DEP_1)
	v_maxmin_f32 v9, v7, s0, 0x43e00000
	s_mov_b32 s0, exec_lo
	v_lshrrev_b32_e32 v10, 24, v9
	v_and_b32_e32 v17, 0x7f800000, v9
	v_and_b32_e32 v7, 0x7fffff, v9
	s_delay_alu instid0(VALU_DEP_3) | instskip(NEXT) | instid1(VALU_DEP_1)
	v_and_b32_e32 v15, 0x80, v10
	v_or_b32_e32 v12, 0x7e, v15
	s_delay_alu instid0(VALU_DEP_4)
	v_cmpx_ne_u64_e32 0x7f800000, v[17:18]
	s_xor_b32 s2, exec_lo, s0
	s_cbranch_execz .LBB2_42
; %bb.27:
	v_dual_mov_b32 v18, v8 :: v_dual_and_b32 v17, 0x7fffffff, v9
	s_mov_b32 s0, exec_lo
	s_delay_alu instid0(VALU_DEP_1)
	v_cmpx_gt_u64_e32 0x43e00001, v[17:18]
	s_xor_b32 s3, exec_lo, s0
	s_cbranch_execz .LBB2_41
; %bb.28:
	v_mov_b32_e32 v12, 0
	s_mov_b32 s4, exec_lo
	v_cmpx_ne_u32_e32 0, v9
	s_cbranch_execz .LBB2_40
; %bb.29:
	v_bfe_u32 v12, v9, 23, 8
	v_or_b32_e32 v18, 0x800000, v7
	s_delay_alu instid0(VALU_DEP_2) | instskip(SKIP_1) | instid1(VALU_DEP_2)
	v_sub_nc_u32_e32 v9, 0x79, v12
	v_cmp_gt_u32_e32 vcc_lo, 0x7a, v12
	v_cndmask_b32_e32 v9, 0, v9, vcc_lo
	v_cmp_eq_u32_e32 vcc_lo, 0, v12
	s_delay_alu instid0(VALU_DEP_2) | instskip(NEXT) | instid1(VALU_DEP_1)
	v_cndmask_b32_e64 v17, v9, 0x78, vcc_lo
	v_dual_cndmask_b32 v7, v18, v7 :: v_dual_add_nc_u32 v18, 19, v17
	v_add_nc_u32_e32 v9, 20, v17
	s_delay_alu instid0(VALU_DEP_1) | instskip(NEXT) | instid1(VALU_DEP_1)
	v_lshlrev_b64 v[9:10], v9, -1
	v_not_b32_e32 v20, v9
	s_delay_alu instid0(VALU_DEP_2) | instskip(SKIP_1) | instid1(VALU_DEP_3)
	v_not_b32_e32 v19, v10
	v_lshlrev_b64 v[9:10], v18, 1
	v_and_b32_e32 v18, v7, v20
	v_lshrrev_b64 v[7:8], v17, v[7:8]
	s_delay_alu instid0(VALU_DEP_4) | instskip(NEXT) | instid1(VALU_DEP_1)
	v_and_b32_e32 v19, 0, v19
	v_cmp_eq_u64_e64 s0, v[18:19], v[9:10]
	s_delay_alu instid0(VALU_DEP_3) | instskip(NEXT) | instid1(VALU_DEP_2)
	v_dual_mov_b32 v10, v8 :: v_dual_mov_b32 v9, v7
	s_and_saveexec_b32 s5, s0
; %bb.30:
	v_bfe_u32 v9, v7, 20, 1
	s_delay_alu instid0(VALU_DEP_1) | instskip(NEXT) | instid1(VALU_DEP_1)
	v_add_co_u32 v9, s0, v7, v9
	v_add_co_u32 v9, s0, v9, -1
; %bb.31:
	s_or_b32 exec_lo, exec_lo, s5
	v_add_nc_u32_e32 v10, 0xffffff81, v12
	v_lshrrev_b32_e32 v12, 23, v7
	s_delay_alu instid0(VALU_DEP_3) | instskip(SKIP_1) | instid1(VALU_DEP_3)
	v_and_b32_e32 v9, 0xfffff, v9
	s_mov_b32 s0, exec_lo
	v_cndmask_b32_e64 v10, v10, 0xffffff82, vcc_lo
	s_delay_alu instid0(VALU_DEP_2) | instskip(SKIP_1) | instid1(VALU_DEP_3)
	v_add_co_u32 v7, vcc_lo, v9, v7
	v_add_co_ci_u32_e32 v8, vcc_lo, 0, v8, vcc_lo
	v_add3_u32 v10, v17, v10, v12
                                        ; implicit-def: $vgpr9
	s_delay_alu instid0(VALU_DEP_1) | instskip(NEXT) | instid1(VALU_DEP_1)
	v_add_nc_u32_e32 v12, 6, v10
	v_cmpx_ne_u32_e32 0, v12
	s_xor_b32 s0, exec_lo, s0
; %bb.32:
	v_cmp_lt_u64_e32 vcc_lo, 0xffffff, v[7:8]
	v_add_nc_u32_e32 v9, 7, v10
	v_cndmask_b32_e64 v10, 0, 1, vcc_lo
	s_delay_alu instid0(VALU_DEP_2) | instskip(NEXT) | instid1(VALU_DEP_2)
	v_cndmask_b32_e32 v9, v12, v9, vcc_lo
	v_lshrrev_b64 v[7:8], v10, v[7:8]
; %bb.33:
	s_and_not1_saveexec_b32 s0, s0
; %bb.34:
	s_delay_alu instid0(VALU_DEP_1)
	v_bfe_u32 v9, v7, 23, 1
; %bb.35:
	s_or_b32 exec_lo, exec_lo, s0
	s_delay_alu instid0(VALU_DEP_2) | instskip(NEXT) | instid1(VALU_DEP_2)
	v_lshrrev_b64 v[7:8], 20, v[7:8]
	v_cmp_gt_i32_e32 vcc_lo, 16, v9
	v_cmp_ne_u32_e64 s0, 0, v9
                                        ; implicit-def: $vgpr12
	s_delay_alu instid0(VALU_DEP_3) | instskip(NEXT) | instid1(VALU_DEP_1)
	v_dual_cndmask_b32 v8, 0, v8 :: v_dual_cndmask_b32 v7, 7, v7
	v_cmp_ne_u64_e32 vcc_lo, 0, v[7:8]
	s_delay_alu instid0(VALU_DEP_3) | instskip(NEXT) | instid1(SALU_CYCLE_1)
	s_or_b32 s0, s0, vcc_lo
	s_and_saveexec_b32 s5, s0
	s_delay_alu instid0(SALU_CYCLE_1)
	s_xor_b32 s0, exec_lo, s5
; %bb.36:
	v_min_i32_e32 v8, 15, v9
	s_delay_alu instid0(VALU_DEP_1) | instskip(NEXT) | instid1(VALU_DEP_1)
	v_lshl_or_b32 v8, v8, 3, v15
                                        ; implicit-def: $vgpr15
	v_and_or_b32 v12, v7, 7, v8
; %bb.37:
	s_and_not1_saveexec_b32 s0, s0
; %bb.38:
	v_mov_b32_e32 v12, v15
; %bb.39:
	s_or_b32 exec_lo, exec_lo, s0
.LBB2_40:
	s_delay_alu instid0(SALU_CYCLE_1)
	s_or_b32 exec_lo, exec_lo, s4
.LBB2_41:
	s_and_not1_saveexec_b32 s0, s3
	s_delay_alu instid0(SALU_CYCLE_1)
	s_or_b32 exec_lo, exec_lo, s0
                                        ; implicit-def: $vgpr10
                                        ; implicit-def: $vgpr7_vgpr8
.LBB2_42:
	s_and_not1_saveexec_b32 s0, s2
; %bb.43:
	v_cmp_eq_u64_e32 vcc_lo, 0, v[7:8]
	v_or_b32_e32 v9, 0x7f, v10
	s_delay_alu instid0(VALU_DEP_1)
	v_cndmask_b32_e32 v12, v9, v12, vcc_lo
; %bb.44:
	s_or_b32 exec_lo, exec_lo, s0
	v_dual_mul_f32 v7, v14, v33 :: v_dual_mov_b32 v8, 0
	s_mov_b32 s0, 0xc3e00000
	s_delay_alu instid0(VALU_DEP_1) | instid1(SALU_CYCLE_1)
	v_maxmin_f32 v9, v7, s0, 0x43e00000
	s_mov_b32 s0, exec_lo
	s_delay_alu instid0(VALU_DEP_2) | instskip(NEXT) | instid1(VALU_DEP_2)
	v_mov_b32_e32 v19, v8
	v_lshrrev_b32_e32 v10, 24, v9
	v_and_b32_e32 v18, 0x7f800000, v9
	v_and_b32_e32 v7, 0x7fffff, v9
	s_delay_alu instid0(VALU_DEP_3) | instskip(NEXT) | instid1(VALU_DEP_1)
	v_and_b32_e32 v17, 0x80, v10
	v_or_b32_e32 v15, 0x7e, v17
	s_delay_alu instid0(VALU_DEP_4)
	v_cmpx_ne_u64_e32 0x7f800000, v[18:19]
	s_xor_b32 s2, exec_lo, s0
	s_cbranch_execz .LBB2_60
; %bb.45:
	v_dual_mov_b32 v19, v8 :: v_dual_and_b32 v18, 0x7fffffff, v9
	s_mov_b32 s0, exec_lo
	s_delay_alu instid0(VALU_DEP_1)
	v_cmpx_gt_u64_e32 0x43e00001, v[18:19]
	s_xor_b32 s3, exec_lo, s0
	s_cbranch_execz .LBB2_59
; %bb.46:
	v_mov_b32_e32 v15, 0
	s_mov_b32 s4, exec_lo
	v_cmpx_ne_u32_e32 0, v9
	s_cbranch_execz .LBB2_58
; %bb.47:
	v_bfe_u32 v15, v9, 23, 8
	v_or_b32_e32 v19, 0x800000, v7
	s_delay_alu instid0(VALU_DEP_2) | instskip(SKIP_1) | instid1(VALU_DEP_2)
	v_sub_nc_u32_e32 v9, 0x79, v15
	v_cmp_gt_u32_e32 vcc_lo, 0x7a, v15
	v_cndmask_b32_e32 v9, 0, v9, vcc_lo
	v_cmp_eq_u32_e32 vcc_lo, 0, v15
	s_delay_alu instid0(VALU_DEP_2) | instskip(SKIP_1) | instid1(VALU_DEP_2)
	v_cndmask_b32_e64 v18, v9, 0x78, vcc_lo
	v_cndmask_b32_e32 v7, v19, v7, vcc_lo
	v_add_nc_u32_e32 v9, 20, v18
	v_add_nc_u32_e32 v19, 19, v18
	s_delay_alu instid0(VALU_DEP_2) | instskip(NEXT) | instid1(VALU_DEP_1)
	v_lshlrev_b64 v[9:10], v9, -1
	v_not_b32_e32 v33, v9
	s_delay_alu instid0(VALU_DEP_2) | instskip(NEXT) | instid1(VALU_DEP_4)
	v_not_b32_e32 v20, v10
	v_lshlrev_b64 v[9:10], v19, 1
	s_delay_alu instid0(VALU_DEP_3) | instskip(SKIP_1) | instid1(VALU_DEP_4)
	v_and_b32_e32 v19, v7, v33
	v_lshrrev_b64 v[7:8], v18, v[7:8]
	v_and_b32_e32 v20, 0, v20
	s_delay_alu instid0(VALU_DEP_1) | instskip(NEXT) | instid1(VALU_DEP_3)
	v_cmp_eq_u64_e64 s0, v[19:20], v[9:10]
	v_dual_mov_b32 v10, v8 :: v_dual_mov_b32 v9, v7
	s_delay_alu instid0(VALU_DEP_2)
	s_and_saveexec_b32 s5, s0
; %bb.48:
	v_bfe_u32 v9, v7, 20, 1
	s_delay_alu instid0(VALU_DEP_1) | instskip(NEXT) | instid1(VALU_DEP_1)
	v_add_co_u32 v9, s0, v7, v9
	v_add_co_u32 v9, s0, v9, -1
; %bb.49:
	s_or_b32 exec_lo, exec_lo, s5
	v_add_nc_u32_e32 v10, 0xffffff81, v15
	v_lshrrev_b32_e32 v15, 23, v7
	s_delay_alu instid0(VALU_DEP_3) | instskip(SKIP_1) | instid1(VALU_DEP_3)
	v_and_b32_e32 v9, 0xfffff, v9
	s_mov_b32 s0, exec_lo
	v_cndmask_b32_e64 v10, v10, 0xffffff82, vcc_lo
	s_delay_alu instid0(VALU_DEP_2) | instskip(SKIP_1) | instid1(VALU_DEP_3)
	v_add_co_u32 v7, vcc_lo, v9, v7
	v_add_co_ci_u32_e32 v8, vcc_lo, 0, v8, vcc_lo
	v_add3_u32 v10, v18, v10, v15
                                        ; implicit-def: $vgpr9
	s_delay_alu instid0(VALU_DEP_1) | instskip(NEXT) | instid1(VALU_DEP_1)
	v_add_nc_u32_e32 v15, 6, v10
	v_cmpx_ne_u32_e32 0, v15
	s_xor_b32 s0, exec_lo, s0
; %bb.50:
	v_cmp_lt_u64_e32 vcc_lo, 0xffffff, v[7:8]
	v_add_nc_u32_e32 v9, 7, v10
	v_cndmask_b32_e64 v10, 0, 1, vcc_lo
	s_delay_alu instid0(VALU_DEP_2) | instskip(NEXT) | instid1(VALU_DEP_2)
	v_cndmask_b32_e32 v9, v15, v9, vcc_lo
	v_lshrrev_b64 v[7:8], v10, v[7:8]
; %bb.51:
	s_and_not1_saveexec_b32 s0, s0
; %bb.52:
	s_delay_alu instid0(VALU_DEP_1)
	v_bfe_u32 v9, v7, 23, 1
; %bb.53:
	s_or_b32 exec_lo, exec_lo, s0
	s_delay_alu instid0(VALU_DEP_2) | instskip(NEXT) | instid1(VALU_DEP_2)
	v_lshrrev_b64 v[7:8], 20, v[7:8]
	v_cmp_gt_i32_e32 vcc_lo, 16, v9
	v_cmp_ne_u32_e64 s0, 0, v9
                                        ; implicit-def: $vgpr15
	s_delay_alu instid0(VALU_DEP_3) | instskip(NEXT) | instid1(VALU_DEP_1)
	v_dual_cndmask_b32 v8, 0, v8 :: v_dual_cndmask_b32 v7, 7, v7
	v_cmp_ne_u64_e32 vcc_lo, 0, v[7:8]
	s_delay_alu instid0(VALU_DEP_3) | instskip(NEXT) | instid1(SALU_CYCLE_1)
	s_or_b32 s0, s0, vcc_lo
	s_and_saveexec_b32 s5, s0
	s_delay_alu instid0(SALU_CYCLE_1)
	s_xor_b32 s0, exec_lo, s5
; %bb.54:
	v_min_i32_e32 v8, 15, v9
	s_delay_alu instid0(VALU_DEP_1) | instskip(NEXT) | instid1(VALU_DEP_1)
	v_lshl_or_b32 v8, v8, 3, v17
                                        ; implicit-def: $vgpr17
	v_and_or_b32 v15, v7, 7, v8
; %bb.55:
	s_and_not1_saveexec_b32 s0, s0
; %bb.56:
	v_mov_b32_e32 v15, v17
; %bb.57:
	s_or_b32 exec_lo, exec_lo, s0
.LBB2_58:
	s_delay_alu instid0(SALU_CYCLE_1)
	s_or_b32 exec_lo, exec_lo, s4
.LBB2_59:
	s_and_not1_saveexec_b32 s0, s3
	s_delay_alu instid0(SALU_CYCLE_1)
	s_or_b32 exec_lo, exec_lo, s0
                                        ; implicit-def: $vgpr10
                                        ; implicit-def: $vgpr7_vgpr8
.LBB2_60:
	s_and_not1_saveexec_b32 s0, s2
; %bb.61:
	v_cmp_eq_u64_e32 vcc_lo, 0, v[7:8]
	v_or_b32_e32 v9, 0x7f, v10
	s_delay_alu instid0(VALU_DEP_1)
	v_cndmask_b32_e32 v15, v9, v15, vcc_lo
; %bb.62:
	s_or_b32 exec_lo, exec_lo, s0
	v_dual_mul_f32 v7, v14, v32 :: v_dual_mov_b32 v8, 0
	s_mov_b32 s0, 0xc3e00000
	s_delay_alu instid0(VALU_DEP_1) | instid1(SALU_CYCLE_1)
	v_maxmin_f32 v9, v7, s0, 0x43e00000
	s_mov_b32 s0, exec_lo
	s_delay_alu instid0(VALU_DEP_2) | instskip(NEXT) | instid1(VALU_DEP_2)
	v_mov_b32_e32 v20, v8
	v_lshrrev_b32_e32 v10, 24, v9
	v_and_b32_e32 v19, 0x7f800000, v9
	v_and_b32_e32 v7, 0x7fffff, v9
	s_delay_alu instid0(VALU_DEP_3) | instskip(NEXT) | instid1(VALU_DEP_1)
	v_and_b32_e32 v18, 0x80, v10
	v_or_b32_e32 v17, 0x7e, v18
	s_delay_alu instid0(VALU_DEP_4)
	v_cmpx_ne_u64_e32 0x7f800000, v[19:20]
	s_xor_b32 s2, exec_lo, s0
	s_cbranch_execz .LBB2_78
; %bb.63:
	v_dual_mov_b32 v20, v8 :: v_dual_and_b32 v19, 0x7fffffff, v9
	s_mov_b32 s0, exec_lo
	s_delay_alu instid0(VALU_DEP_1)
	v_cmpx_gt_u64_e32 0x43e00001, v[19:20]
	s_xor_b32 s3, exec_lo, s0
	s_cbranch_execz .LBB2_77
; %bb.64:
	v_mov_b32_e32 v17, 0
	s_mov_b32 s4, exec_lo
	v_cmpx_ne_u32_e32 0, v9
	s_cbranch_execz .LBB2_76
; %bb.65:
	v_bfe_u32 v17, v9, 23, 8
	v_or_b32_e32 v20, 0x800000, v7
	s_delay_alu instid0(VALU_DEP_2) | instskip(SKIP_1) | instid1(VALU_DEP_2)
	v_sub_nc_u32_e32 v9, 0x79, v17
	v_cmp_gt_u32_e32 vcc_lo, 0x7a, v17
	v_cndmask_b32_e32 v9, 0, v9, vcc_lo
	v_cmp_eq_u32_e32 vcc_lo, 0, v17
	s_delay_alu instid0(VALU_DEP_2) | instskip(SKIP_1) | instid1(VALU_DEP_2)
	v_cndmask_b32_e64 v19, v9, 0x78, vcc_lo
	v_cndmask_b32_e32 v7, v20, v7, vcc_lo
	v_add_nc_u32_e32 v20, 19, v19
	v_add_nc_u32_e32 v9, 20, v19
	s_delay_alu instid0(VALU_DEP_1) | instskip(NEXT) | instid1(VALU_DEP_1)
	v_lshlrev_b64 v[9:10], v9, -1
	v_not_b32_e32 v32, v10
	s_delay_alu instid0(VALU_DEP_2) | instskip(SKIP_1) | instid1(VALU_DEP_3)
	v_not_b32_e32 v34, v9
	v_lshlrev_b64 v[9:10], v20, 1
	v_and_b32_e32 v33, 0, v32
	s_delay_alu instid0(VALU_DEP_3) | instskip(SKIP_1) | instid1(VALU_DEP_2)
	v_and_b32_e32 v32, v7, v34
	v_lshrrev_b64 v[7:8], v19, v[7:8]
	v_cmp_eq_u64_e64 s0, v[32:33], v[9:10]
	s_delay_alu instid0(VALU_DEP_2) | instskip(NEXT) | instid1(VALU_DEP_2)
	v_dual_mov_b32 v10, v8 :: v_dual_mov_b32 v9, v7
	s_and_saveexec_b32 s5, s0
; %bb.66:
	v_bfe_u32 v9, v7, 20, 1
	s_delay_alu instid0(VALU_DEP_1) | instskip(NEXT) | instid1(VALU_DEP_1)
	v_add_co_u32 v9, s0, v7, v9
	v_add_co_u32 v9, s0, v9, -1
; %bb.67:
	s_or_b32 exec_lo, exec_lo, s5
	v_add_nc_u32_e32 v10, 0xffffff81, v17
	v_lshrrev_b32_e32 v17, 23, v7
	s_delay_alu instid0(VALU_DEP_3) | instskip(SKIP_1) | instid1(VALU_DEP_3)
	v_and_b32_e32 v9, 0xfffff, v9
	s_mov_b32 s0, exec_lo
	v_cndmask_b32_e64 v10, v10, 0xffffff82, vcc_lo
	s_delay_alu instid0(VALU_DEP_2) | instskip(SKIP_1) | instid1(VALU_DEP_3)
	v_add_co_u32 v7, vcc_lo, v9, v7
	v_add_co_ci_u32_e32 v8, vcc_lo, 0, v8, vcc_lo
	v_add3_u32 v10, v19, v10, v17
                                        ; implicit-def: $vgpr9
	s_delay_alu instid0(VALU_DEP_1) | instskip(NEXT) | instid1(VALU_DEP_1)
	v_add_nc_u32_e32 v17, 6, v10
	v_cmpx_ne_u32_e32 0, v17
	s_xor_b32 s0, exec_lo, s0
; %bb.68:
	v_cmp_lt_u64_e32 vcc_lo, 0xffffff, v[7:8]
	v_add_nc_u32_e32 v9, 7, v10
	v_cndmask_b32_e64 v10, 0, 1, vcc_lo
	s_delay_alu instid0(VALU_DEP_2) | instskip(NEXT) | instid1(VALU_DEP_2)
	v_cndmask_b32_e32 v9, v17, v9, vcc_lo
	v_lshrrev_b64 v[7:8], v10, v[7:8]
; %bb.69:
	s_and_not1_saveexec_b32 s0, s0
; %bb.70:
	s_delay_alu instid0(VALU_DEP_1)
	v_bfe_u32 v9, v7, 23, 1
; %bb.71:
	s_or_b32 exec_lo, exec_lo, s0
	s_delay_alu instid0(VALU_DEP_2) | instskip(NEXT) | instid1(VALU_DEP_2)
	v_lshrrev_b64 v[7:8], 20, v[7:8]
	v_cmp_gt_i32_e32 vcc_lo, 16, v9
	v_cmp_ne_u32_e64 s0, 0, v9
                                        ; implicit-def: $vgpr17
	s_delay_alu instid0(VALU_DEP_3) | instskip(NEXT) | instid1(VALU_DEP_1)
	v_dual_cndmask_b32 v8, 0, v8 :: v_dual_cndmask_b32 v7, 7, v7
	v_cmp_ne_u64_e32 vcc_lo, 0, v[7:8]
	s_delay_alu instid0(VALU_DEP_3) | instskip(NEXT) | instid1(SALU_CYCLE_1)
	s_or_b32 s0, s0, vcc_lo
	s_and_saveexec_b32 s5, s0
	s_delay_alu instid0(SALU_CYCLE_1)
	s_xor_b32 s0, exec_lo, s5
; %bb.72:
	v_min_i32_e32 v8, 15, v9
	s_delay_alu instid0(VALU_DEP_1) | instskip(NEXT) | instid1(VALU_DEP_1)
	v_lshl_or_b32 v8, v8, 3, v18
                                        ; implicit-def: $vgpr18
	v_and_or_b32 v17, v7, 7, v8
; %bb.73:
	s_and_not1_saveexec_b32 s0, s0
; %bb.74:
	v_mov_b32_e32 v17, v18
; %bb.75:
	s_or_b32 exec_lo, exec_lo, s0
.LBB2_76:
	s_delay_alu instid0(SALU_CYCLE_1)
	s_or_b32 exec_lo, exec_lo, s4
.LBB2_77:
	s_and_not1_saveexec_b32 s0, s3
	s_delay_alu instid0(SALU_CYCLE_1)
	s_or_b32 exec_lo, exec_lo, s0
                                        ; implicit-def: $vgpr10
                                        ; implicit-def: $vgpr7_vgpr8
.LBB2_78:
	s_and_not1_saveexec_b32 s0, s2
; %bb.79:
	v_cmp_eq_u64_e32 vcc_lo, 0, v[7:8]
	v_or_b32_e32 v9, 0x7f, v10
	s_delay_alu instid0(VALU_DEP_1)
	v_cndmask_b32_e32 v17, v9, v17, vcc_lo
; %bb.80:
	s_or_b32 exec_lo, exec_lo, s0
	v_dual_mul_f32 v7, v14, v31 :: v_dual_mov_b32 v8, 0
	s_mov_b32 s0, 0xc3e00000
	s_delay_alu instid0(VALU_DEP_1) | instid1(SALU_CYCLE_1)
	v_maxmin_f32 v9, v7, s0, 0x43e00000
	s_mov_b32 s0, exec_lo
	s_delay_alu instid0(VALU_DEP_2) | instskip(NEXT) | instid1(VALU_DEP_2)
	v_mov_b32_e32 v32, v8
	v_lshrrev_b32_e32 v10, 24, v9
	v_and_b32_e32 v31, 0x7f800000, v9
	v_and_b32_e32 v7, 0x7fffff, v9
	s_delay_alu instid0(VALU_DEP_3) | instskip(NEXT) | instid1(VALU_DEP_1)
	v_and_b32_e32 v19, 0x80, v10
	v_or_b32_e32 v18, 0x7e, v19
	s_delay_alu instid0(VALU_DEP_4)
	v_cmpx_ne_u64_e32 0x7f800000, v[31:32]
	s_xor_b32 s2, exec_lo, s0
	s_cbranch_execz .LBB2_96
; %bb.81:
	v_dual_mov_b32 v32, v8 :: v_dual_and_b32 v31, 0x7fffffff, v9
	s_mov_b32 s0, exec_lo
	s_delay_alu instid0(VALU_DEP_1)
	v_cmpx_gt_u64_e32 0x43e00001, v[31:32]
	s_xor_b32 s3, exec_lo, s0
	s_cbranch_execz .LBB2_95
; %bb.82:
	v_mov_b32_e32 v18, 0
	s_mov_b32 s4, exec_lo
	v_cmpx_ne_u32_e32 0, v9
	s_cbranch_execz .LBB2_94
; %bb.83:
	v_bfe_u32 v18, v9, 23, 8
	v_or_b32_e32 v31, 0x800000, v7
	s_delay_alu instid0(VALU_DEP_2) | instskip(SKIP_1) | instid1(VALU_DEP_2)
	v_sub_nc_u32_e32 v9, 0x79, v18
	v_cmp_gt_u32_e32 vcc_lo, 0x7a, v18
	v_cndmask_b32_e32 v9, 0, v9, vcc_lo
	v_cmp_eq_u32_e32 vcc_lo, 0, v18
	s_delay_alu instid0(VALU_DEP_2) | instskip(SKIP_1) | instid1(VALU_DEP_2)
	v_cndmask_b32_e64 v20, v9, 0x78, vcc_lo
	v_cndmask_b32_e32 v7, v31, v7, vcc_lo
	v_add_nc_u32_e32 v9, 20, v20
	v_add_nc_u32_e32 v31, 19, v20
	s_delay_alu instid0(VALU_DEP_2) | instskip(NEXT) | instid1(VALU_DEP_1)
	v_lshlrev_b64 v[9:10], v9, -1
	v_not_b32_e32 v33, v9
	s_delay_alu instid0(VALU_DEP_2) | instskip(NEXT) | instid1(VALU_DEP_4)
	v_not_b32_e32 v32, v10
	v_lshlrev_b64 v[9:10], v31, 1
	s_delay_alu instid0(VALU_DEP_3) | instskip(SKIP_1) | instid1(VALU_DEP_4)
	v_and_b32_e32 v31, v7, v33
	v_lshrrev_b64 v[7:8], v20, v[7:8]
	v_and_b32_e32 v32, 0, v32
	s_delay_alu instid0(VALU_DEP_1) | instskip(NEXT) | instid1(VALU_DEP_3)
	v_cmp_eq_u64_e64 s0, v[31:32], v[9:10]
	v_dual_mov_b32 v10, v8 :: v_dual_mov_b32 v9, v7
	s_delay_alu instid0(VALU_DEP_2)
	s_and_saveexec_b32 s5, s0
; %bb.84:
	v_bfe_u32 v9, v7, 20, 1
	s_delay_alu instid0(VALU_DEP_1) | instskip(NEXT) | instid1(VALU_DEP_1)
	v_add_co_u32 v9, s0, v7, v9
	v_add_co_u32 v9, s0, v9, -1
; %bb.85:
	s_or_b32 exec_lo, exec_lo, s5
	v_add_nc_u32_e32 v10, 0xffffff81, v18
	v_lshrrev_b32_e32 v18, 23, v7
	s_delay_alu instid0(VALU_DEP_3) | instskip(SKIP_1) | instid1(VALU_DEP_3)
	v_and_b32_e32 v9, 0xfffff, v9
	s_mov_b32 s0, exec_lo
	v_cndmask_b32_e64 v10, v10, 0xffffff82, vcc_lo
	s_delay_alu instid0(VALU_DEP_2) | instskip(SKIP_1) | instid1(VALU_DEP_3)
	v_add_co_u32 v7, vcc_lo, v9, v7
	v_add_co_ci_u32_e32 v8, vcc_lo, 0, v8, vcc_lo
	v_add3_u32 v10, v20, v10, v18
                                        ; implicit-def: $vgpr9
	s_delay_alu instid0(VALU_DEP_1) | instskip(NEXT) | instid1(VALU_DEP_1)
	v_add_nc_u32_e32 v18, 6, v10
	v_cmpx_ne_u32_e32 0, v18
	s_xor_b32 s0, exec_lo, s0
; %bb.86:
	v_cmp_lt_u64_e32 vcc_lo, 0xffffff, v[7:8]
	v_add_nc_u32_e32 v9, 7, v10
	v_cndmask_b32_e64 v10, 0, 1, vcc_lo
	s_delay_alu instid0(VALU_DEP_2) | instskip(NEXT) | instid1(VALU_DEP_2)
	v_cndmask_b32_e32 v9, v18, v9, vcc_lo
	v_lshrrev_b64 v[7:8], v10, v[7:8]
; %bb.87:
	s_and_not1_saveexec_b32 s0, s0
; %bb.88:
	s_delay_alu instid0(VALU_DEP_1)
	v_bfe_u32 v9, v7, 23, 1
; %bb.89:
	s_or_b32 exec_lo, exec_lo, s0
	s_delay_alu instid0(VALU_DEP_2) | instskip(NEXT) | instid1(VALU_DEP_2)
	v_lshrrev_b64 v[7:8], 20, v[7:8]
	v_cmp_gt_i32_e32 vcc_lo, 16, v9
	v_cmp_ne_u32_e64 s0, 0, v9
                                        ; implicit-def: $vgpr18
	s_delay_alu instid0(VALU_DEP_3) | instskip(NEXT) | instid1(VALU_DEP_1)
	v_dual_cndmask_b32 v8, 0, v8 :: v_dual_cndmask_b32 v7, 7, v7
	v_cmp_ne_u64_e32 vcc_lo, 0, v[7:8]
	s_delay_alu instid0(VALU_DEP_3) | instskip(NEXT) | instid1(SALU_CYCLE_1)
	s_or_b32 s0, s0, vcc_lo
	s_and_saveexec_b32 s5, s0
	s_delay_alu instid0(SALU_CYCLE_1)
	s_xor_b32 s0, exec_lo, s5
; %bb.90:
	v_min_i32_e32 v8, 15, v9
	s_delay_alu instid0(VALU_DEP_1) | instskip(NEXT) | instid1(VALU_DEP_1)
	v_lshl_or_b32 v8, v8, 3, v19
                                        ; implicit-def: $vgpr19
	v_and_or_b32 v18, v7, 7, v8
; %bb.91:
	s_and_not1_saveexec_b32 s0, s0
; %bb.92:
	v_mov_b32_e32 v18, v19
; %bb.93:
	s_or_b32 exec_lo, exec_lo, s0
.LBB2_94:
	s_delay_alu instid0(SALU_CYCLE_1)
	s_or_b32 exec_lo, exec_lo, s4
.LBB2_95:
	s_and_not1_saveexec_b32 s0, s3
	s_delay_alu instid0(SALU_CYCLE_1)
	s_or_b32 exec_lo, exec_lo, s0
                                        ; implicit-def: $vgpr10
                                        ; implicit-def: $vgpr7_vgpr8
.LBB2_96:
	s_and_not1_saveexec_b32 s0, s2
; %bb.97:
	v_cmp_eq_u64_e32 vcc_lo, 0, v[7:8]
	v_or_b32_e32 v9, 0x7f, v10
	s_delay_alu instid0(VALU_DEP_1)
	v_cndmask_b32_e32 v18, v9, v18, vcc_lo
; %bb.98:
	s_or_b32 exec_lo, exec_lo, s0
	v_dual_mul_f32 v7, v14, v30 :: v_dual_mov_b32 v8, 0
	s_mov_b32 s0, 0xc3e00000
	s_delay_alu instid0(VALU_DEP_1) | instid1(SALU_CYCLE_1)
	v_maxmin_f32 v9, v7, s0, 0x43e00000
	s_mov_b32 s0, exec_lo
	s_delay_alu instid0(VALU_DEP_2) | instskip(NEXT) | instid1(VALU_DEP_2)
	v_mov_b32_e32 v31, v8
	v_lshrrev_b32_e32 v10, 24, v9
	v_and_b32_e32 v30, 0x7f800000, v9
	v_and_b32_e32 v7, 0x7fffff, v9
	s_delay_alu instid0(VALU_DEP_3) | instskip(NEXT) | instid1(VALU_DEP_1)
	v_and_b32_e32 v20, 0x80, v10
	v_or_b32_e32 v19, 0x7e, v20
	s_delay_alu instid0(VALU_DEP_4)
	v_cmpx_ne_u64_e32 0x7f800000, v[30:31]
	s_xor_b32 s2, exec_lo, s0
	s_cbranch_execz .LBB2_114
; %bb.99:
	v_dual_mov_b32 v31, v8 :: v_dual_and_b32 v30, 0x7fffffff, v9
	s_mov_b32 s0, exec_lo
	s_delay_alu instid0(VALU_DEP_1)
	v_cmpx_gt_u64_e32 0x43e00001, v[30:31]
	s_xor_b32 s3, exec_lo, s0
	s_cbranch_execz .LBB2_113
; %bb.100:
	v_mov_b32_e32 v19, 0
	s_mov_b32 s4, exec_lo
	v_cmpx_ne_u32_e32 0, v9
	s_cbranch_execz .LBB2_112
; %bb.101:
	v_bfe_u32 v19, v9, 23, 8
	v_or_b32_e32 v31, 0x800000, v7
	s_delay_alu instid0(VALU_DEP_2) | instskip(SKIP_1) | instid1(VALU_DEP_2)
	v_sub_nc_u32_e32 v9, 0x79, v19
	v_cmp_gt_u32_e32 vcc_lo, 0x7a, v19
	v_cndmask_b32_e32 v9, 0, v9, vcc_lo
	v_cmp_eq_u32_e32 vcc_lo, 0, v19
	s_delay_alu instid0(VALU_DEP_2) | instskip(SKIP_1) | instid1(VALU_DEP_2)
	v_cndmask_b32_e64 v30, v9, 0x78, vcc_lo
	v_cndmask_b32_e32 v7, v31, v7, vcc_lo
	v_add_nc_u32_e32 v9, 20, v30
	v_add_nc_u32_e32 v31, 19, v30
	s_delay_alu instid0(VALU_DEP_2) | instskip(NEXT) | instid1(VALU_DEP_1)
	v_lshlrev_b64 v[9:10], v9, -1
	v_not_b32_e32 v33, v9
	s_delay_alu instid0(VALU_DEP_2) | instskip(NEXT) | instid1(VALU_DEP_4)
	v_not_b32_e32 v32, v10
	v_lshlrev_b64 v[9:10], v31, 1
	s_delay_alu instid0(VALU_DEP_3) | instskip(SKIP_1) | instid1(VALU_DEP_4)
	v_and_b32_e32 v31, v7, v33
	v_lshrrev_b64 v[7:8], v30, v[7:8]
	v_and_b32_e32 v32, 0, v32
	s_delay_alu instid0(VALU_DEP_1) | instskip(NEXT) | instid1(VALU_DEP_3)
	v_cmp_eq_u64_e64 s0, v[31:32], v[9:10]
	v_dual_mov_b32 v10, v8 :: v_dual_mov_b32 v9, v7
	s_delay_alu instid0(VALU_DEP_2)
	s_and_saveexec_b32 s5, s0
; %bb.102:
	v_bfe_u32 v9, v7, 20, 1
	s_delay_alu instid0(VALU_DEP_1) | instskip(NEXT) | instid1(VALU_DEP_1)
	v_add_co_u32 v9, s0, v7, v9
	v_add_co_u32 v9, s0, v9, -1
; %bb.103:
	s_or_b32 exec_lo, exec_lo, s5
	v_add_nc_u32_e32 v10, 0xffffff81, v19
	v_lshrrev_b32_e32 v19, 23, v7
	s_delay_alu instid0(VALU_DEP_3) | instskip(SKIP_1) | instid1(VALU_DEP_3)
	v_and_b32_e32 v9, 0xfffff, v9
	s_mov_b32 s0, exec_lo
	v_cndmask_b32_e64 v10, v10, 0xffffff82, vcc_lo
	s_delay_alu instid0(VALU_DEP_2) | instskip(SKIP_1) | instid1(VALU_DEP_3)
	v_add_co_u32 v7, vcc_lo, v9, v7
	v_add_co_ci_u32_e32 v8, vcc_lo, 0, v8, vcc_lo
	v_add3_u32 v10, v30, v10, v19
                                        ; implicit-def: $vgpr9
	s_delay_alu instid0(VALU_DEP_1) | instskip(NEXT) | instid1(VALU_DEP_1)
	v_add_nc_u32_e32 v19, 6, v10
	v_cmpx_ne_u32_e32 0, v19
	s_xor_b32 s0, exec_lo, s0
; %bb.104:
	v_cmp_lt_u64_e32 vcc_lo, 0xffffff, v[7:8]
	v_add_nc_u32_e32 v9, 7, v10
	v_cndmask_b32_e64 v10, 0, 1, vcc_lo
	s_delay_alu instid0(VALU_DEP_2) | instskip(NEXT) | instid1(VALU_DEP_2)
	v_cndmask_b32_e32 v9, v19, v9, vcc_lo
	v_lshrrev_b64 v[7:8], v10, v[7:8]
; %bb.105:
	s_and_not1_saveexec_b32 s0, s0
; %bb.106:
	s_delay_alu instid0(VALU_DEP_1)
	v_bfe_u32 v9, v7, 23, 1
; %bb.107:
	s_or_b32 exec_lo, exec_lo, s0
	s_delay_alu instid0(VALU_DEP_2) | instskip(NEXT) | instid1(VALU_DEP_2)
	v_lshrrev_b64 v[7:8], 20, v[7:8]
	v_cmp_gt_i32_e32 vcc_lo, 16, v9
	v_cmp_ne_u32_e64 s0, 0, v9
                                        ; implicit-def: $vgpr19
	s_delay_alu instid0(VALU_DEP_3) | instskip(NEXT) | instid1(VALU_DEP_1)
	v_dual_cndmask_b32 v8, 0, v8 :: v_dual_cndmask_b32 v7, 7, v7
	v_cmp_ne_u64_e32 vcc_lo, 0, v[7:8]
	s_delay_alu instid0(VALU_DEP_3) | instskip(NEXT) | instid1(SALU_CYCLE_1)
	s_or_b32 s0, s0, vcc_lo
	s_and_saveexec_b32 s5, s0
	s_delay_alu instid0(SALU_CYCLE_1)
	s_xor_b32 s0, exec_lo, s5
; %bb.108:
	v_min_i32_e32 v8, 15, v9
	s_delay_alu instid0(VALU_DEP_1) | instskip(NEXT) | instid1(VALU_DEP_1)
	v_lshl_or_b32 v8, v8, 3, v20
                                        ; implicit-def: $vgpr20
	v_and_or_b32 v19, v7, 7, v8
; %bb.109:
	s_and_not1_saveexec_b32 s0, s0
; %bb.110:
	v_mov_b32_e32 v19, v20
; %bb.111:
	s_or_b32 exec_lo, exec_lo, s0
.LBB2_112:
	s_delay_alu instid0(SALU_CYCLE_1)
	s_or_b32 exec_lo, exec_lo, s4
.LBB2_113:
	s_and_not1_saveexec_b32 s0, s3
	s_delay_alu instid0(SALU_CYCLE_1)
	s_or_b32 exec_lo, exec_lo, s0
                                        ; implicit-def: $vgpr10
                                        ; implicit-def: $vgpr7_vgpr8
.LBB2_114:
	s_and_not1_saveexec_b32 s0, s2
; %bb.115:
	v_cmp_eq_u64_e32 vcc_lo, 0, v[7:8]
	v_or_b32_e32 v9, 0x7f, v10
	s_delay_alu instid0(VALU_DEP_1)
	v_cndmask_b32_e32 v19, v9, v19, vcc_lo
; %bb.116:
	s_or_b32 exec_lo, exec_lo, s0
	v_dual_mul_f32 v7, v14, v29 :: v_dual_mov_b32 v8, 0
	s_mov_b32 s0, 0xc3e00000
	s_delay_alu instid0(VALU_DEP_1) | instid1(SALU_CYCLE_1)
	v_maxmin_f32 v9, v7, s0, 0x43e00000
	s_mov_b32 s0, exec_lo
	s_delay_alu instid0(VALU_DEP_2) | instskip(NEXT) | instid1(VALU_DEP_2)
	v_mov_b32_e32 v31, v8
	v_lshrrev_b32_e32 v10, 24, v9
	v_and_b32_e32 v30, 0x7f800000, v9
	v_and_b32_e32 v7, 0x7fffff, v9
	s_delay_alu instid0(VALU_DEP_3) | instskip(NEXT) | instid1(VALU_DEP_1)
	v_and_b32_e32 v29, 0x80, v10
	v_or_b32_e32 v20, 0x7e, v29
	s_delay_alu instid0(VALU_DEP_4)
	v_cmpx_ne_u64_e32 0x7f800000, v[30:31]
	s_xor_b32 s2, exec_lo, s0
	s_cbranch_execz .LBB2_132
; %bb.117:
	v_dual_mov_b32 v31, v8 :: v_dual_and_b32 v30, 0x7fffffff, v9
	s_mov_b32 s0, exec_lo
	s_delay_alu instid0(VALU_DEP_1)
	v_cmpx_gt_u64_e32 0x43e00001, v[30:31]
	s_xor_b32 s3, exec_lo, s0
	s_cbranch_execz .LBB2_131
; %bb.118:
	v_mov_b32_e32 v20, 0
	s_mov_b32 s4, exec_lo
	v_cmpx_ne_u32_e32 0, v9
	s_cbranch_execz .LBB2_130
; %bb.119:
	v_bfe_u32 v20, v9, 23, 8
	v_or_b32_e32 v31, 0x800000, v7
	s_delay_alu instid0(VALU_DEP_2) | instskip(SKIP_1) | instid1(VALU_DEP_2)
	v_sub_nc_u32_e32 v9, 0x79, v20
	v_cmp_gt_u32_e32 vcc_lo, 0x7a, v20
	v_cndmask_b32_e32 v9, 0, v9, vcc_lo
	v_cmp_eq_u32_e32 vcc_lo, 0, v20
	s_delay_alu instid0(VALU_DEP_2) | instskip(SKIP_1) | instid1(VALU_DEP_2)
	v_cndmask_b32_e64 v30, v9, 0x78, vcc_lo
	v_cndmask_b32_e32 v7, v31, v7, vcc_lo
	v_add_nc_u32_e32 v9, 20, v30
	v_add_nc_u32_e32 v31, 19, v30
	s_delay_alu instid0(VALU_DEP_2) | instskip(NEXT) | instid1(VALU_DEP_1)
	v_lshlrev_b64 v[9:10], v9, -1
	v_not_b32_e32 v33, v9
	s_delay_alu instid0(VALU_DEP_2) | instskip(NEXT) | instid1(VALU_DEP_4)
	v_not_b32_e32 v32, v10
	v_lshlrev_b64 v[9:10], v31, 1
	s_delay_alu instid0(VALU_DEP_3) | instskip(SKIP_1) | instid1(VALU_DEP_4)
	v_and_b32_e32 v31, v7, v33
	v_lshrrev_b64 v[7:8], v30, v[7:8]
	v_and_b32_e32 v32, 0, v32
	s_delay_alu instid0(VALU_DEP_1) | instskip(NEXT) | instid1(VALU_DEP_3)
	v_cmp_eq_u64_e64 s0, v[31:32], v[9:10]
	v_dual_mov_b32 v10, v8 :: v_dual_mov_b32 v9, v7
	s_delay_alu instid0(VALU_DEP_2)
	s_and_saveexec_b32 s5, s0
; %bb.120:
	v_bfe_u32 v9, v7, 20, 1
	s_delay_alu instid0(VALU_DEP_1) | instskip(NEXT) | instid1(VALU_DEP_1)
	v_add_co_u32 v9, s0, v7, v9
	v_add_co_u32 v9, s0, v9, -1
; %bb.121:
	s_or_b32 exec_lo, exec_lo, s5
	v_add_nc_u32_e32 v10, 0xffffff81, v20
	v_lshrrev_b32_e32 v20, 23, v7
	s_delay_alu instid0(VALU_DEP_3) | instskip(SKIP_1) | instid1(VALU_DEP_3)
	v_and_b32_e32 v9, 0xfffff, v9
	s_mov_b32 s0, exec_lo
	v_cndmask_b32_e64 v10, v10, 0xffffff82, vcc_lo
	s_delay_alu instid0(VALU_DEP_2) | instskip(SKIP_1) | instid1(VALU_DEP_3)
	v_add_co_u32 v7, vcc_lo, v9, v7
	v_add_co_ci_u32_e32 v8, vcc_lo, 0, v8, vcc_lo
	v_add3_u32 v10, v30, v10, v20
                                        ; implicit-def: $vgpr9
	s_delay_alu instid0(VALU_DEP_1) | instskip(NEXT) | instid1(VALU_DEP_1)
	v_add_nc_u32_e32 v20, 6, v10
	v_cmpx_ne_u32_e32 0, v20
	s_xor_b32 s0, exec_lo, s0
; %bb.122:
	v_cmp_lt_u64_e32 vcc_lo, 0xffffff, v[7:8]
	v_add_nc_u32_e32 v9, 7, v10
	v_cndmask_b32_e64 v10, 0, 1, vcc_lo
	s_delay_alu instid0(VALU_DEP_2) | instskip(NEXT) | instid1(VALU_DEP_2)
	v_cndmask_b32_e32 v9, v20, v9, vcc_lo
	v_lshrrev_b64 v[7:8], v10, v[7:8]
; %bb.123:
	s_and_not1_saveexec_b32 s0, s0
; %bb.124:
	s_delay_alu instid0(VALU_DEP_1)
	v_bfe_u32 v9, v7, 23, 1
; %bb.125:
	s_or_b32 exec_lo, exec_lo, s0
	s_delay_alu instid0(VALU_DEP_2) | instskip(NEXT) | instid1(VALU_DEP_2)
	v_lshrrev_b64 v[7:8], 20, v[7:8]
	v_cmp_gt_i32_e32 vcc_lo, 16, v9
	v_cmp_ne_u32_e64 s0, 0, v9
                                        ; implicit-def: $vgpr20
	s_delay_alu instid0(VALU_DEP_3) | instskip(NEXT) | instid1(VALU_DEP_1)
	v_dual_cndmask_b32 v8, 0, v8 :: v_dual_cndmask_b32 v7, 7, v7
	v_cmp_ne_u64_e32 vcc_lo, 0, v[7:8]
	s_delay_alu instid0(VALU_DEP_3) | instskip(NEXT) | instid1(SALU_CYCLE_1)
	s_or_b32 s0, s0, vcc_lo
	s_and_saveexec_b32 s5, s0
	s_delay_alu instid0(SALU_CYCLE_1)
	s_xor_b32 s0, exec_lo, s5
; %bb.126:
	v_min_i32_e32 v8, 15, v9
	s_delay_alu instid0(VALU_DEP_1) | instskip(NEXT) | instid1(VALU_DEP_1)
	v_lshl_or_b32 v8, v8, 3, v29
                                        ; implicit-def: $vgpr29
	v_and_or_b32 v20, v7, 7, v8
; %bb.127:
	s_and_not1_saveexec_b32 s0, s0
; %bb.128:
	v_mov_b32_e32 v20, v29
; %bb.129:
	s_or_b32 exec_lo, exec_lo, s0
.LBB2_130:
	s_delay_alu instid0(SALU_CYCLE_1)
	s_or_b32 exec_lo, exec_lo, s4
.LBB2_131:
	s_and_not1_saveexec_b32 s0, s3
	s_delay_alu instid0(SALU_CYCLE_1)
	s_or_b32 exec_lo, exec_lo, s0
                                        ; implicit-def: $vgpr10
                                        ; implicit-def: $vgpr7_vgpr8
.LBB2_132:
	s_and_not1_saveexec_b32 s0, s2
; %bb.133:
	v_cmp_eq_u64_e32 vcc_lo, 0, v[7:8]
	v_or_b32_e32 v9, 0x7f, v10
	s_delay_alu instid0(VALU_DEP_1)
	v_cndmask_b32_e32 v20, v9, v20, vcc_lo
; %bb.134:
	s_or_b32 exec_lo, exec_lo, s0
	v_dual_mul_f32 v7, v14, v25 :: v_dual_mov_b32 v8, 0
	s_mov_b32 s0, 0xc3e00000
	s_delay_alu instid0(VALU_DEP_1) | instid1(SALU_CYCLE_1)
	v_maxmin_f32 v9, v7, s0, 0x43e00000
	s_mov_b32 s0, exec_lo
	s_delay_alu instid0(VALU_DEP_2) | instskip(NEXT) | instid1(VALU_DEP_2)
	v_mov_b32_e32 v31, v8
	v_lshrrev_b32_e32 v10, 24, v9
	v_and_b32_e32 v30, 0x7f800000, v9
	v_and_b32_e32 v7, 0x7fffff, v9
	s_delay_alu instid0(VALU_DEP_3) | instskip(NEXT) | instid1(VALU_DEP_1)
	v_and_b32_e32 v29, 0x80, v10
	v_or_b32_e32 v25, 0x7e, v29
	s_delay_alu instid0(VALU_DEP_4)
	v_cmpx_ne_u64_e32 0x7f800000, v[30:31]
	s_xor_b32 s2, exec_lo, s0
	s_cbranch_execz .LBB2_150
; %bb.135:
	v_dual_mov_b32 v31, v8 :: v_dual_and_b32 v30, 0x7fffffff, v9
	s_mov_b32 s0, exec_lo
	s_delay_alu instid0(VALU_DEP_1)
	v_cmpx_gt_u64_e32 0x43e00001, v[30:31]
	s_xor_b32 s3, exec_lo, s0
	s_cbranch_execz .LBB2_149
; %bb.136:
	v_mov_b32_e32 v25, 0
	s_mov_b32 s4, exec_lo
	v_cmpx_ne_u32_e32 0, v9
	s_cbranch_execz .LBB2_148
; %bb.137:
	v_bfe_u32 v25, v9, 23, 8
	v_or_b32_e32 v31, 0x800000, v7
	s_delay_alu instid0(VALU_DEP_2) | instskip(SKIP_1) | instid1(VALU_DEP_2)
	v_sub_nc_u32_e32 v9, 0x79, v25
	v_cmp_gt_u32_e32 vcc_lo, 0x7a, v25
	v_cndmask_b32_e32 v9, 0, v9, vcc_lo
	v_cmp_eq_u32_e32 vcc_lo, 0, v25
	s_delay_alu instid0(VALU_DEP_2) | instskip(SKIP_1) | instid1(VALU_DEP_2)
	v_cndmask_b32_e64 v30, v9, 0x78, vcc_lo
	v_cndmask_b32_e32 v7, v31, v7, vcc_lo
	v_add_nc_u32_e32 v9, 20, v30
	v_add_nc_u32_e32 v31, 19, v30
	s_delay_alu instid0(VALU_DEP_2) | instskip(NEXT) | instid1(VALU_DEP_1)
	v_lshlrev_b64 v[9:10], v9, -1
	v_not_b32_e32 v33, v9
	s_delay_alu instid0(VALU_DEP_2) | instskip(NEXT) | instid1(VALU_DEP_4)
	v_not_b32_e32 v32, v10
	v_lshlrev_b64 v[9:10], v31, 1
	s_delay_alu instid0(VALU_DEP_3) | instskip(SKIP_1) | instid1(VALU_DEP_4)
	v_and_b32_e32 v31, v7, v33
	v_lshrrev_b64 v[7:8], v30, v[7:8]
	v_and_b32_e32 v32, 0, v32
	s_delay_alu instid0(VALU_DEP_1) | instskip(NEXT) | instid1(VALU_DEP_3)
	v_cmp_eq_u64_e64 s0, v[31:32], v[9:10]
	v_dual_mov_b32 v10, v8 :: v_dual_mov_b32 v9, v7
	s_delay_alu instid0(VALU_DEP_2)
	s_and_saveexec_b32 s5, s0
; %bb.138:
	v_bfe_u32 v9, v7, 20, 1
	s_delay_alu instid0(VALU_DEP_1) | instskip(NEXT) | instid1(VALU_DEP_1)
	v_add_co_u32 v9, s0, v7, v9
	v_add_co_u32 v9, s0, v9, -1
; %bb.139:
	s_or_b32 exec_lo, exec_lo, s5
	v_add_nc_u32_e32 v10, 0xffffff81, v25
	v_lshrrev_b32_e32 v25, 23, v7
	s_delay_alu instid0(VALU_DEP_3) | instskip(SKIP_1) | instid1(VALU_DEP_3)
	v_and_b32_e32 v9, 0xfffff, v9
	s_mov_b32 s0, exec_lo
	v_cndmask_b32_e64 v10, v10, 0xffffff82, vcc_lo
	s_delay_alu instid0(VALU_DEP_2) | instskip(SKIP_1) | instid1(VALU_DEP_3)
	v_add_co_u32 v7, vcc_lo, v9, v7
	v_add_co_ci_u32_e32 v8, vcc_lo, 0, v8, vcc_lo
	v_add3_u32 v10, v30, v10, v25
                                        ; implicit-def: $vgpr9
	s_delay_alu instid0(VALU_DEP_1) | instskip(NEXT) | instid1(VALU_DEP_1)
	v_add_nc_u32_e32 v25, 6, v10
	v_cmpx_ne_u32_e32 0, v25
	s_xor_b32 s0, exec_lo, s0
; %bb.140:
	v_cmp_lt_u64_e32 vcc_lo, 0xffffff, v[7:8]
	v_add_nc_u32_e32 v9, 7, v10
	v_cndmask_b32_e64 v10, 0, 1, vcc_lo
	s_delay_alu instid0(VALU_DEP_2) | instskip(NEXT) | instid1(VALU_DEP_2)
	v_cndmask_b32_e32 v9, v25, v9, vcc_lo
	v_lshrrev_b64 v[7:8], v10, v[7:8]
; %bb.141:
	s_and_not1_saveexec_b32 s0, s0
; %bb.142:
	s_delay_alu instid0(VALU_DEP_1)
	v_bfe_u32 v9, v7, 23, 1
; %bb.143:
	s_or_b32 exec_lo, exec_lo, s0
	s_delay_alu instid0(VALU_DEP_2) | instskip(NEXT) | instid1(VALU_DEP_2)
	v_lshrrev_b64 v[7:8], 20, v[7:8]
	v_cmp_gt_i32_e32 vcc_lo, 16, v9
	v_cmp_ne_u32_e64 s0, 0, v9
                                        ; implicit-def: $vgpr25
	s_delay_alu instid0(VALU_DEP_3) | instskip(NEXT) | instid1(VALU_DEP_1)
	v_dual_cndmask_b32 v8, 0, v8 :: v_dual_cndmask_b32 v7, 7, v7
	v_cmp_ne_u64_e32 vcc_lo, 0, v[7:8]
	s_delay_alu instid0(VALU_DEP_3) | instskip(NEXT) | instid1(SALU_CYCLE_1)
	s_or_b32 s0, s0, vcc_lo
	s_and_saveexec_b32 s5, s0
	s_delay_alu instid0(SALU_CYCLE_1)
	s_xor_b32 s0, exec_lo, s5
; %bb.144:
	v_min_i32_e32 v8, 15, v9
	s_delay_alu instid0(VALU_DEP_1) | instskip(NEXT) | instid1(VALU_DEP_1)
	v_lshl_or_b32 v8, v8, 3, v29
                                        ; implicit-def: $vgpr29
	v_and_or_b32 v25, v7, 7, v8
; %bb.145:
	s_and_not1_saveexec_b32 s0, s0
; %bb.146:
	v_mov_b32_e32 v25, v29
; %bb.147:
	s_or_b32 exec_lo, exec_lo, s0
.LBB2_148:
	s_delay_alu instid0(SALU_CYCLE_1)
	s_or_b32 exec_lo, exec_lo, s4
.LBB2_149:
	s_and_not1_saveexec_b32 s0, s3
	s_delay_alu instid0(SALU_CYCLE_1)
	s_or_b32 exec_lo, exec_lo, s0
                                        ; implicit-def: $vgpr10
                                        ; implicit-def: $vgpr7_vgpr8
.LBB2_150:
	s_and_not1_saveexec_b32 s0, s2
; %bb.151:
	v_cmp_eq_u64_e32 vcc_lo, 0, v[7:8]
	v_or_b32_e32 v9, 0x7f, v10
	s_delay_alu instid0(VALU_DEP_1)
	v_cndmask_b32_e32 v25, v9, v25, vcc_lo
; %bb.152:
	s_or_b32 exec_lo, exec_lo, s0
	v_dual_mul_f32 v7, v14, v27 :: v_dual_mov_b32 v8, 0
	s_mov_b32 s0, 0xc3e00000
	s_delay_alu instid0(VALU_DEP_1) | instid1(SALU_CYCLE_1)
	v_maxmin_f32 v9, v7, s0, 0x43e00000
	s_mov_b32 s0, exec_lo
	s_delay_alu instid0(VALU_DEP_2) | instskip(NEXT) | instid1(VALU_DEP_2)
	v_mov_b32_e32 v31, v8
	v_lshrrev_b32_e32 v10, 24, v9
	v_and_b32_e32 v30, 0x7f800000, v9
	v_and_b32_e32 v7, 0x7fffff, v9
	s_delay_alu instid0(VALU_DEP_3) | instskip(NEXT) | instid1(VALU_DEP_1)
	v_and_b32_e32 v29, 0x80, v10
	v_or_b32_e32 v27, 0x7e, v29
	s_delay_alu instid0(VALU_DEP_4)
	v_cmpx_ne_u64_e32 0x7f800000, v[30:31]
	s_xor_b32 s2, exec_lo, s0
	s_cbranch_execz .LBB2_168
; %bb.153:
	v_dual_mov_b32 v31, v8 :: v_dual_and_b32 v30, 0x7fffffff, v9
	s_mov_b32 s0, exec_lo
	s_delay_alu instid0(VALU_DEP_1)
	v_cmpx_gt_u64_e32 0x43e00001, v[30:31]
	s_xor_b32 s3, exec_lo, s0
	s_cbranch_execz .LBB2_167
; %bb.154:
	v_mov_b32_e32 v27, 0
	s_mov_b32 s4, exec_lo
	v_cmpx_ne_u32_e32 0, v9
	s_cbranch_execz .LBB2_166
; %bb.155:
	v_bfe_u32 v27, v9, 23, 8
	v_or_b32_e32 v31, 0x800000, v7
	s_delay_alu instid0(VALU_DEP_2) | instskip(SKIP_1) | instid1(VALU_DEP_2)
	v_sub_nc_u32_e32 v9, 0x79, v27
	v_cmp_gt_u32_e32 vcc_lo, 0x7a, v27
	v_cndmask_b32_e32 v9, 0, v9, vcc_lo
	v_cmp_eq_u32_e32 vcc_lo, 0, v27
	s_delay_alu instid0(VALU_DEP_2) | instskip(SKIP_1) | instid1(VALU_DEP_2)
	v_cndmask_b32_e64 v30, v9, 0x78, vcc_lo
	v_cndmask_b32_e32 v7, v31, v7, vcc_lo
	v_add_nc_u32_e32 v9, 20, v30
	v_add_nc_u32_e32 v31, 19, v30
	s_delay_alu instid0(VALU_DEP_2) | instskip(NEXT) | instid1(VALU_DEP_1)
	v_lshlrev_b64 v[9:10], v9, -1
	v_not_b32_e32 v33, v9
	s_delay_alu instid0(VALU_DEP_2) | instskip(NEXT) | instid1(VALU_DEP_4)
	v_not_b32_e32 v32, v10
	v_lshlrev_b64 v[9:10], v31, 1
	s_delay_alu instid0(VALU_DEP_3) | instskip(SKIP_1) | instid1(VALU_DEP_4)
	v_and_b32_e32 v31, v7, v33
	v_lshrrev_b64 v[7:8], v30, v[7:8]
	v_and_b32_e32 v32, 0, v32
	s_delay_alu instid0(VALU_DEP_1) | instskip(NEXT) | instid1(VALU_DEP_3)
	v_cmp_eq_u64_e64 s0, v[31:32], v[9:10]
	v_dual_mov_b32 v10, v8 :: v_dual_mov_b32 v9, v7
	s_delay_alu instid0(VALU_DEP_2)
	s_and_saveexec_b32 s5, s0
; %bb.156:
	v_bfe_u32 v9, v7, 20, 1
	s_delay_alu instid0(VALU_DEP_1) | instskip(NEXT) | instid1(VALU_DEP_1)
	v_add_co_u32 v9, s0, v7, v9
	v_add_co_u32 v9, s0, v9, -1
; %bb.157:
	s_or_b32 exec_lo, exec_lo, s5
	v_add_nc_u32_e32 v10, 0xffffff81, v27
	v_lshrrev_b32_e32 v27, 23, v7
	s_delay_alu instid0(VALU_DEP_3) | instskip(SKIP_1) | instid1(VALU_DEP_3)
	v_and_b32_e32 v9, 0xfffff, v9
	s_mov_b32 s0, exec_lo
	v_cndmask_b32_e64 v10, v10, 0xffffff82, vcc_lo
	s_delay_alu instid0(VALU_DEP_2) | instskip(SKIP_1) | instid1(VALU_DEP_3)
	v_add_co_u32 v7, vcc_lo, v9, v7
	v_add_co_ci_u32_e32 v8, vcc_lo, 0, v8, vcc_lo
	v_add3_u32 v10, v30, v10, v27
                                        ; implicit-def: $vgpr9
	s_delay_alu instid0(VALU_DEP_1) | instskip(NEXT) | instid1(VALU_DEP_1)
	v_add_nc_u32_e32 v27, 6, v10
	v_cmpx_ne_u32_e32 0, v27
	s_xor_b32 s0, exec_lo, s0
; %bb.158:
	v_cmp_lt_u64_e32 vcc_lo, 0xffffff, v[7:8]
	v_add_nc_u32_e32 v9, 7, v10
	v_cndmask_b32_e64 v10, 0, 1, vcc_lo
	s_delay_alu instid0(VALU_DEP_2) | instskip(NEXT) | instid1(VALU_DEP_2)
	v_cndmask_b32_e32 v9, v27, v9, vcc_lo
	v_lshrrev_b64 v[7:8], v10, v[7:8]
; %bb.159:
	s_and_not1_saveexec_b32 s0, s0
; %bb.160:
	s_delay_alu instid0(VALU_DEP_1)
	v_bfe_u32 v9, v7, 23, 1
; %bb.161:
	s_or_b32 exec_lo, exec_lo, s0
	s_delay_alu instid0(VALU_DEP_2) | instskip(NEXT) | instid1(VALU_DEP_2)
	v_lshrrev_b64 v[7:8], 20, v[7:8]
	v_cmp_gt_i32_e32 vcc_lo, 16, v9
	v_cmp_ne_u32_e64 s0, 0, v9
                                        ; implicit-def: $vgpr27
	s_delay_alu instid0(VALU_DEP_3) | instskip(NEXT) | instid1(VALU_DEP_1)
	v_dual_cndmask_b32 v8, 0, v8 :: v_dual_cndmask_b32 v7, 7, v7
	v_cmp_ne_u64_e32 vcc_lo, 0, v[7:8]
	s_delay_alu instid0(VALU_DEP_3) | instskip(NEXT) | instid1(SALU_CYCLE_1)
	s_or_b32 s0, s0, vcc_lo
	s_and_saveexec_b32 s5, s0
	s_delay_alu instid0(SALU_CYCLE_1)
	s_xor_b32 s0, exec_lo, s5
; %bb.162:
	v_min_i32_e32 v8, 15, v9
	s_delay_alu instid0(VALU_DEP_1) | instskip(NEXT) | instid1(VALU_DEP_1)
	v_lshl_or_b32 v8, v8, 3, v29
                                        ; implicit-def: $vgpr29
	v_and_or_b32 v27, v7, 7, v8
; %bb.163:
	s_and_not1_saveexec_b32 s0, s0
; %bb.164:
	v_mov_b32_e32 v27, v29
; %bb.165:
	s_or_b32 exec_lo, exec_lo, s0
.LBB2_166:
	s_delay_alu instid0(SALU_CYCLE_1)
	s_or_b32 exec_lo, exec_lo, s4
.LBB2_167:
	s_and_not1_saveexec_b32 s0, s3
	s_delay_alu instid0(SALU_CYCLE_1)
	s_or_b32 exec_lo, exec_lo, s0
                                        ; implicit-def: $vgpr10
                                        ; implicit-def: $vgpr7_vgpr8
.LBB2_168:
	s_and_not1_saveexec_b32 s0, s2
; %bb.169:
	v_cmp_eq_u64_e32 vcc_lo, 0, v[7:8]
	v_or_b32_e32 v9, 0x7f, v10
	s_delay_alu instid0(VALU_DEP_1)
	v_cndmask_b32_e32 v27, v9, v27, vcc_lo
; %bb.170:
	s_or_b32 exec_lo, exec_lo, s0
	v_dual_mul_f32 v7, v14, v28 :: v_dual_mov_b32 v8, 0
	s_mov_b32 s0, 0xc3e00000
	s_delay_alu instid0(VALU_DEP_1) | instid1(SALU_CYCLE_1)
	v_maxmin_f32 v9, v7, s0, 0x43e00000
	s_mov_b32 s0, exec_lo
	s_delay_alu instid0(VALU_DEP_2) | instskip(NEXT) | instid1(VALU_DEP_2)
	v_mov_b32_e32 v31, v8
	v_lshrrev_b32_e32 v10, 24, v9
	v_and_b32_e32 v30, 0x7f800000, v9
	v_and_b32_e32 v7, 0x7fffff, v9
	s_delay_alu instid0(VALU_DEP_3) | instskip(NEXT) | instid1(VALU_DEP_1)
	v_and_b32_e32 v29, 0x80, v10
	v_or_b32_e32 v28, 0x7e, v29
	s_delay_alu instid0(VALU_DEP_4)
	v_cmpx_ne_u64_e32 0x7f800000, v[30:31]
	s_xor_b32 s2, exec_lo, s0
	s_cbranch_execz .LBB2_186
; %bb.171:
	v_dual_mov_b32 v31, v8 :: v_dual_and_b32 v30, 0x7fffffff, v9
	s_mov_b32 s0, exec_lo
	s_delay_alu instid0(VALU_DEP_1)
	v_cmpx_gt_u64_e32 0x43e00001, v[30:31]
	s_xor_b32 s3, exec_lo, s0
	s_cbranch_execz .LBB2_185
; %bb.172:
	v_mov_b32_e32 v28, 0
	s_mov_b32 s4, exec_lo
	v_cmpx_ne_u32_e32 0, v9
	s_cbranch_execz .LBB2_184
; %bb.173:
	v_bfe_u32 v28, v9, 23, 8
	v_or_b32_e32 v31, 0x800000, v7
	s_delay_alu instid0(VALU_DEP_2) | instskip(SKIP_1) | instid1(VALU_DEP_2)
	v_sub_nc_u32_e32 v9, 0x79, v28
	v_cmp_gt_u32_e32 vcc_lo, 0x7a, v28
	v_cndmask_b32_e32 v9, 0, v9, vcc_lo
	v_cmp_eq_u32_e32 vcc_lo, 0, v28
	s_delay_alu instid0(VALU_DEP_2) | instskip(SKIP_1) | instid1(VALU_DEP_2)
	v_cndmask_b32_e64 v30, v9, 0x78, vcc_lo
	v_cndmask_b32_e32 v7, v31, v7, vcc_lo
	v_add_nc_u32_e32 v9, 20, v30
	v_add_nc_u32_e32 v31, 19, v30
	s_delay_alu instid0(VALU_DEP_2) | instskip(NEXT) | instid1(VALU_DEP_1)
	v_lshlrev_b64 v[9:10], v9, -1
	v_not_b32_e32 v33, v9
	s_delay_alu instid0(VALU_DEP_2) | instskip(NEXT) | instid1(VALU_DEP_4)
	v_not_b32_e32 v32, v10
	v_lshlrev_b64 v[9:10], v31, 1
	s_delay_alu instid0(VALU_DEP_3) | instskip(SKIP_1) | instid1(VALU_DEP_4)
	v_and_b32_e32 v31, v7, v33
	v_lshrrev_b64 v[7:8], v30, v[7:8]
	v_and_b32_e32 v32, 0, v32
	s_delay_alu instid0(VALU_DEP_1) | instskip(NEXT) | instid1(VALU_DEP_3)
	v_cmp_eq_u64_e64 s0, v[31:32], v[9:10]
	v_dual_mov_b32 v10, v8 :: v_dual_mov_b32 v9, v7
	s_delay_alu instid0(VALU_DEP_2)
	s_and_saveexec_b32 s5, s0
; %bb.174:
	v_bfe_u32 v9, v7, 20, 1
	s_delay_alu instid0(VALU_DEP_1) | instskip(NEXT) | instid1(VALU_DEP_1)
	v_add_co_u32 v9, s0, v7, v9
	v_add_co_u32 v9, s0, v9, -1
; %bb.175:
	s_or_b32 exec_lo, exec_lo, s5
	v_add_nc_u32_e32 v10, 0xffffff81, v28
	v_lshrrev_b32_e32 v28, 23, v7
	s_delay_alu instid0(VALU_DEP_3) | instskip(SKIP_1) | instid1(VALU_DEP_3)
	v_and_b32_e32 v9, 0xfffff, v9
	s_mov_b32 s0, exec_lo
	v_cndmask_b32_e64 v10, v10, 0xffffff82, vcc_lo
	s_delay_alu instid0(VALU_DEP_2) | instskip(SKIP_1) | instid1(VALU_DEP_3)
	v_add_co_u32 v7, vcc_lo, v9, v7
	v_add_co_ci_u32_e32 v8, vcc_lo, 0, v8, vcc_lo
	v_add3_u32 v10, v30, v10, v28
                                        ; implicit-def: $vgpr9
	s_delay_alu instid0(VALU_DEP_1) | instskip(NEXT) | instid1(VALU_DEP_1)
	v_add_nc_u32_e32 v28, 6, v10
	v_cmpx_ne_u32_e32 0, v28
	s_xor_b32 s0, exec_lo, s0
; %bb.176:
	v_cmp_lt_u64_e32 vcc_lo, 0xffffff, v[7:8]
	v_add_nc_u32_e32 v9, 7, v10
	v_cndmask_b32_e64 v10, 0, 1, vcc_lo
	s_delay_alu instid0(VALU_DEP_2) | instskip(NEXT) | instid1(VALU_DEP_2)
	v_cndmask_b32_e32 v9, v28, v9, vcc_lo
	v_lshrrev_b64 v[7:8], v10, v[7:8]
; %bb.177:
	s_and_not1_saveexec_b32 s0, s0
; %bb.178:
	s_delay_alu instid0(VALU_DEP_1)
	v_bfe_u32 v9, v7, 23, 1
; %bb.179:
	s_or_b32 exec_lo, exec_lo, s0
	s_delay_alu instid0(VALU_DEP_2) | instskip(NEXT) | instid1(VALU_DEP_2)
	v_lshrrev_b64 v[7:8], 20, v[7:8]
	v_cmp_gt_i32_e32 vcc_lo, 16, v9
	v_cmp_ne_u32_e64 s0, 0, v9
                                        ; implicit-def: $vgpr28
	s_delay_alu instid0(VALU_DEP_3) | instskip(NEXT) | instid1(VALU_DEP_1)
	v_dual_cndmask_b32 v8, 0, v8 :: v_dual_cndmask_b32 v7, 7, v7
	v_cmp_ne_u64_e32 vcc_lo, 0, v[7:8]
	s_delay_alu instid0(VALU_DEP_3) | instskip(NEXT) | instid1(SALU_CYCLE_1)
	s_or_b32 s0, s0, vcc_lo
	s_and_saveexec_b32 s5, s0
	s_delay_alu instid0(SALU_CYCLE_1)
	s_xor_b32 s0, exec_lo, s5
; %bb.180:
	v_min_i32_e32 v8, 15, v9
	s_delay_alu instid0(VALU_DEP_1) | instskip(NEXT) | instid1(VALU_DEP_1)
	v_lshl_or_b32 v8, v8, 3, v29
                                        ; implicit-def: $vgpr29
	v_and_or_b32 v28, v7, 7, v8
; %bb.181:
	s_and_not1_saveexec_b32 s0, s0
; %bb.182:
	v_mov_b32_e32 v28, v29
; %bb.183:
	s_or_b32 exec_lo, exec_lo, s0
.LBB2_184:
	s_delay_alu instid0(SALU_CYCLE_1)
	s_or_b32 exec_lo, exec_lo, s4
.LBB2_185:
	s_and_not1_saveexec_b32 s0, s3
	s_delay_alu instid0(SALU_CYCLE_1)
	s_or_b32 exec_lo, exec_lo, s0
                                        ; implicit-def: $vgpr10
                                        ; implicit-def: $vgpr7_vgpr8
.LBB2_186:
	s_and_not1_saveexec_b32 s0, s2
; %bb.187:
	v_cmp_eq_u64_e32 vcc_lo, 0, v[7:8]
	v_or_b32_e32 v9, 0x7f, v10
	s_delay_alu instid0(VALU_DEP_1)
	v_cndmask_b32_e32 v28, v9, v28, vcc_lo
; %bb.188:
	s_or_b32 exec_lo, exec_lo, s0
	v_dual_mul_f32 v7, v14, v26 :: v_dual_mov_b32 v8, 0
	s_mov_b32 s0, 0xc3e00000
	s_delay_alu instid0(VALU_DEP_1) | instid1(SALU_CYCLE_1)
	v_maxmin_f32 v9, v7, s0, 0x43e00000
	s_mov_b32 s0, exec_lo
	s_delay_alu instid0(VALU_DEP_2) | instskip(NEXT) | instid1(VALU_DEP_2)
	v_mov_b32_e32 v31, v8
	v_lshrrev_b32_e32 v10, 24, v9
	v_and_b32_e32 v30, 0x7f800000, v9
	v_and_b32_e32 v7, 0x7fffff, v9
	s_delay_alu instid0(VALU_DEP_3) | instskip(NEXT) | instid1(VALU_DEP_1)
	v_and_b32_e32 v29, 0x80, v10
	v_or_b32_e32 v26, 0x7e, v29
	s_delay_alu instid0(VALU_DEP_4)
	v_cmpx_ne_u64_e32 0x7f800000, v[30:31]
	s_xor_b32 s2, exec_lo, s0
	s_cbranch_execz .LBB2_204
; %bb.189:
	v_dual_mov_b32 v31, v8 :: v_dual_and_b32 v30, 0x7fffffff, v9
	s_mov_b32 s0, exec_lo
	s_delay_alu instid0(VALU_DEP_1)
	v_cmpx_gt_u64_e32 0x43e00001, v[30:31]
	s_xor_b32 s3, exec_lo, s0
	s_cbranch_execz .LBB2_203
; %bb.190:
	v_mov_b32_e32 v26, 0
	s_mov_b32 s4, exec_lo
	v_cmpx_ne_u32_e32 0, v9
	s_cbranch_execz .LBB2_202
; %bb.191:
	v_bfe_u32 v26, v9, 23, 8
	v_or_b32_e32 v31, 0x800000, v7
	s_delay_alu instid0(VALU_DEP_2) | instskip(SKIP_1) | instid1(VALU_DEP_2)
	v_sub_nc_u32_e32 v9, 0x79, v26
	v_cmp_gt_u32_e32 vcc_lo, 0x7a, v26
	v_cndmask_b32_e32 v9, 0, v9, vcc_lo
	v_cmp_eq_u32_e32 vcc_lo, 0, v26
	s_delay_alu instid0(VALU_DEP_2) | instskip(SKIP_1) | instid1(VALU_DEP_2)
	v_cndmask_b32_e64 v30, v9, 0x78, vcc_lo
	v_cndmask_b32_e32 v7, v31, v7, vcc_lo
	v_add_nc_u32_e32 v9, 20, v30
	v_add_nc_u32_e32 v31, 19, v30
	s_delay_alu instid0(VALU_DEP_2) | instskip(NEXT) | instid1(VALU_DEP_1)
	v_lshlrev_b64 v[9:10], v9, -1
	v_not_b32_e32 v33, v9
	s_delay_alu instid0(VALU_DEP_2) | instskip(NEXT) | instid1(VALU_DEP_4)
	v_not_b32_e32 v32, v10
	v_lshlrev_b64 v[9:10], v31, 1
	s_delay_alu instid0(VALU_DEP_3) | instskip(SKIP_1) | instid1(VALU_DEP_4)
	v_and_b32_e32 v31, v7, v33
	v_lshrrev_b64 v[7:8], v30, v[7:8]
	v_and_b32_e32 v32, 0, v32
	s_delay_alu instid0(VALU_DEP_1) | instskip(NEXT) | instid1(VALU_DEP_3)
	v_cmp_eq_u64_e64 s0, v[31:32], v[9:10]
	v_dual_mov_b32 v10, v8 :: v_dual_mov_b32 v9, v7
	s_delay_alu instid0(VALU_DEP_2)
	s_and_saveexec_b32 s5, s0
; %bb.192:
	v_bfe_u32 v9, v7, 20, 1
	s_delay_alu instid0(VALU_DEP_1) | instskip(NEXT) | instid1(VALU_DEP_1)
	v_add_co_u32 v9, s0, v7, v9
	v_add_co_u32 v9, s0, v9, -1
; %bb.193:
	s_or_b32 exec_lo, exec_lo, s5
	v_add_nc_u32_e32 v10, 0xffffff81, v26
	v_lshrrev_b32_e32 v26, 23, v7
	s_delay_alu instid0(VALU_DEP_3) | instskip(SKIP_1) | instid1(VALU_DEP_3)
	v_and_b32_e32 v9, 0xfffff, v9
	s_mov_b32 s0, exec_lo
	v_cndmask_b32_e64 v10, v10, 0xffffff82, vcc_lo
	s_delay_alu instid0(VALU_DEP_2) | instskip(SKIP_1) | instid1(VALU_DEP_3)
	v_add_co_u32 v7, vcc_lo, v9, v7
	v_add_co_ci_u32_e32 v8, vcc_lo, 0, v8, vcc_lo
	v_add3_u32 v10, v30, v10, v26
                                        ; implicit-def: $vgpr9
	s_delay_alu instid0(VALU_DEP_1) | instskip(NEXT) | instid1(VALU_DEP_1)
	v_add_nc_u32_e32 v26, 6, v10
	v_cmpx_ne_u32_e32 0, v26
	s_xor_b32 s0, exec_lo, s0
; %bb.194:
	v_cmp_lt_u64_e32 vcc_lo, 0xffffff, v[7:8]
	v_add_nc_u32_e32 v9, 7, v10
	v_cndmask_b32_e64 v10, 0, 1, vcc_lo
	s_delay_alu instid0(VALU_DEP_2) | instskip(NEXT) | instid1(VALU_DEP_2)
	v_cndmask_b32_e32 v9, v26, v9, vcc_lo
	v_lshrrev_b64 v[7:8], v10, v[7:8]
; %bb.195:
	s_and_not1_saveexec_b32 s0, s0
; %bb.196:
	s_delay_alu instid0(VALU_DEP_1)
	v_bfe_u32 v9, v7, 23, 1
; %bb.197:
	s_or_b32 exec_lo, exec_lo, s0
	s_delay_alu instid0(VALU_DEP_2) | instskip(NEXT) | instid1(VALU_DEP_2)
	v_lshrrev_b64 v[7:8], 20, v[7:8]
	v_cmp_gt_i32_e32 vcc_lo, 16, v9
	v_cmp_ne_u32_e64 s0, 0, v9
                                        ; implicit-def: $vgpr26
	s_delay_alu instid0(VALU_DEP_3) | instskip(NEXT) | instid1(VALU_DEP_1)
	v_dual_cndmask_b32 v8, 0, v8 :: v_dual_cndmask_b32 v7, 7, v7
	v_cmp_ne_u64_e32 vcc_lo, 0, v[7:8]
	s_delay_alu instid0(VALU_DEP_3) | instskip(NEXT) | instid1(SALU_CYCLE_1)
	s_or_b32 s0, s0, vcc_lo
	s_and_saveexec_b32 s5, s0
	s_delay_alu instid0(SALU_CYCLE_1)
	s_xor_b32 s0, exec_lo, s5
; %bb.198:
	v_min_i32_e32 v8, 15, v9
	s_delay_alu instid0(VALU_DEP_1) | instskip(NEXT) | instid1(VALU_DEP_1)
	v_lshl_or_b32 v8, v8, 3, v29
                                        ; implicit-def: $vgpr29
	v_and_or_b32 v26, v7, 7, v8
; %bb.199:
	s_and_not1_saveexec_b32 s0, s0
; %bb.200:
	v_mov_b32_e32 v26, v29
; %bb.201:
	s_or_b32 exec_lo, exec_lo, s0
.LBB2_202:
	s_delay_alu instid0(SALU_CYCLE_1)
	s_or_b32 exec_lo, exec_lo, s4
.LBB2_203:
	s_and_not1_saveexec_b32 s0, s3
	s_delay_alu instid0(SALU_CYCLE_1)
	s_or_b32 exec_lo, exec_lo, s0
                                        ; implicit-def: $vgpr10
                                        ; implicit-def: $vgpr7_vgpr8
.LBB2_204:
	s_and_not1_saveexec_b32 s0, s2
; %bb.205:
	v_cmp_eq_u64_e32 vcc_lo, 0, v[7:8]
	v_or_b32_e32 v9, 0x7f, v10
	s_delay_alu instid0(VALU_DEP_1)
	v_cndmask_b32_e32 v26, v9, v26, vcc_lo
; %bb.206:
	s_or_b32 exec_lo, exec_lo, s0
	v_dual_mul_f32 v7, v14, v24 :: v_dual_mov_b32 v8, 0
	s_mov_b32 s0, 0xc3e00000
	s_delay_alu instid0(VALU_DEP_1) | instid1(SALU_CYCLE_1)
	v_maxmin_f32 v9, v7, s0, 0x43e00000
	s_mov_b32 s0, exec_lo
	s_delay_alu instid0(VALU_DEP_2) | instskip(NEXT) | instid1(VALU_DEP_2)
	v_mov_b32_e32 v31, v8
	v_lshrrev_b32_e32 v10, 24, v9
	v_and_b32_e32 v30, 0x7f800000, v9
	v_and_b32_e32 v7, 0x7fffff, v9
	s_delay_alu instid0(VALU_DEP_3) | instskip(NEXT) | instid1(VALU_DEP_1)
	v_and_b32_e32 v29, 0x80, v10
	v_or_b32_e32 v24, 0x7e, v29
	s_delay_alu instid0(VALU_DEP_4)
	v_cmpx_ne_u64_e32 0x7f800000, v[30:31]
	s_xor_b32 s2, exec_lo, s0
	s_cbranch_execz .LBB2_222
; %bb.207:
	v_dual_mov_b32 v31, v8 :: v_dual_and_b32 v30, 0x7fffffff, v9
	s_mov_b32 s0, exec_lo
	s_delay_alu instid0(VALU_DEP_1)
	v_cmpx_gt_u64_e32 0x43e00001, v[30:31]
	s_xor_b32 s3, exec_lo, s0
	s_cbranch_execz .LBB2_221
; %bb.208:
	v_mov_b32_e32 v24, 0
	s_mov_b32 s4, exec_lo
	v_cmpx_ne_u32_e32 0, v9
	s_cbranch_execz .LBB2_220
; %bb.209:
	v_bfe_u32 v24, v9, 23, 8
	v_or_b32_e32 v31, 0x800000, v7
	s_delay_alu instid0(VALU_DEP_2) | instskip(SKIP_1) | instid1(VALU_DEP_2)
	v_sub_nc_u32_e32 v9, 0x79, v24
	v_cmp_gt_u32_e32 vcc_lo, 0x7a, v24
	v_cndmask_b32_e32 v9, 0, v9, vcc_lo
	v_cmp_eq_u32_e32 vcc_lo, 0, v24
	s_delay_alu instid0(VALU_DEP_2) | instskip(SKIP_1) | instid1(VALU_DEP_2)
	v_cndmask_b32_e64 v30, v9, 0x78, vcc_lo
	v_cndmask_b32_e32 v7, v31, v7, vcc_lo
	v_add_nc_u32_e32 v9, 20, v30
	v_add_nc_u32_e32 v31, 19, v30
	s_delay_alu instid0(VALU_DEP_2) | instskip(NEXT) | instid1(VALU_DEP_1)
	v_lshlrev_b64 v[9:10], v9, -1
	v_not_b32_e32 v33, v9
	s_delay_alu instid0(VALU_DEP_2) | instskip(NEXT) | instid1(VALU_DEP_4)
	v_not_b32_e32 v32, v10
	v_lshlrev_b64 v[9:10], v31, 1
	s_delay_alu instid0(VALU_DEP_3) | instskip(SKIP_1) | instid1(VALU_DEP_4)
	v_and_b32_e32 v31, v7, v33
	v_lshrrev_b64 v[7:8], v30, v[7:8]
	v_and_b32_e32 v32, 0, v32
	s_delay_alu instid0(VALU_DEP_1) | instskip(NEXT) | instid1(VALU_DEP_3)
	v_cmp_eq_u64_e64 s0, v[31:32], v[9:10]
	v_dual_mov_b32 v10, v8 :: v_dual_mov_b32 v9, v7
	s_delay_alu instid0(VALU_DEP_2)
	s_and_saveexec_b32 s5, s0
; %bb.210:
	v_bfe_u32 v9, v7, 20, 1
	s_delay_alu instid0(VALU_DEP_1) | instskip(NEXT) | instid1(VALU_DEP_1)
	v_add_co_u32 v9, s0, v7, v9
	v_add_co_u32 v9, s0, v9, -1
; %bb.211:
	s_or_b32 exec_lo, exec_lo, s5
	v_add_nc_u32_e32 v10, 0xffffff81, v24
	v_lshrrev_b32_e32 v24, 23, v7
	s_delay_alu instid0(VALU_DEP_3) | instskip(SKIP_1) | instid1(VALU_DEP_3)
	v_and_b32_e32 v9, 0xfffff, v9
	s_mov_b32 s0, exec_lo
	v_cndmask_b32_e64 v10, v10, 0xffffff82, vcc_lo
	s_delay_alu instid0(VALU_DEP_2) | instskip(SKIP_1) | instid1(VALU_DEP_3)
	v_add_co_u32 v7, vcc_lo, v9, v7
	v_add_co_ci_u32_e32 v8, vcc_lo, 0, v8, vcc_lo
	v_add3_u32 v10, v30, v10, v24
                                        ; implicit-def: $vgpr9
	s_delay_alu instid0(VALU_DEP_1) | instskip(NEXT) | instid1(VALU_DEP_1)
	v_add_nc_u32_e32 v24, 6, v10
	v_cmpx_ne_u32_e32 0, v24
	s_xor_b32 s0, exec_lo, s0
; %bb.212:
	v_cmp_lt_u64_e32 vcc_lo, 0xffffff, v[7:8]
	v_add_nc_u32_e32 v9, 7, v10
	v_cndmask_b32_e64 v10, 0, 1, vcc_lo
	s_delay_alu instid0(VALU_DEP_2) | instskip(NEXT) | instid1(VALU_DEP_2)
	v_cndmask_b32_e32 v9, v24, v9, vcc_lo
	v_lshrrev_b64 v[7:8], v10, v[7:8]
; %bb.213:
	s_and_not1_saveexec_b32 s0, s0
; %bb.214:
	s_delay_alu instid0(VALU_DEP_1)
	v_bfe_u32 v9, v7, 23, 1
; %bb.215:
	s_or_b32 exec_lo, exec_lo, s0
	s_delay_alu instid0(VALU_DEP_2) | instskip(NEXT) | instid1(VALU_DEP_2)
	v_lshrrev_b64 v[7:8], 20, v[7:8]
	v_cmp_gt_i32_e32 vcc_lo, 16, v9
	v_cmp_ne_u32_e64 s0, 0, v9
                                        ; implicit-def: $vgpr24
	s_delay_alu instid0(VALU_DEP_3) | instskip(NEXT) | instid1(VALU_DEP_1)
	v_dual_cndmask_b32 v8, 0, v8 :: v_dual_cndmask_b32 v7, 7, v7
	v_cmp_ne_u64_e32 vcc_lo, 0, v[7:8]
	s_delay_alu instid0(VALU_DEP_3) | instskip(NEXT) | instid1(SALU_CYCLE_1)
	s_or_b32 s0, s0, vcc_lo
	s_and_saveexec_b32 s5, s0
	s_delay_alu instid0(SALU_CYCLE_1)
	s_xor_b32 s0, exec_lo, s5
; %bb.216:
	v_min_i32_e32 v8, 15, v9
	s_delay_alu instid0(VALU_DEP_1) | instskip(NEXT) | instid1(VALU_DEP_1)
	v_lshl_or_b32 v8, v8, 3, v29
                                        ; implicit-def: $vgpr29
	v_and_or_b32 v24, v7, 7, v8
; %bb.217:
	s_and_not1_saveexec_b32 s0, s0
; %bb.218:
	v_mov_b32_e32 v24, v29
; %bb.219:
	s_or_b32 exec_lo, exec_lo, s0
.LBB2_220:
	s_delay_alu instid0(SALU_CYCLE_1)
	s_or_b32 exec_lo, exec_lo, s4
.LBB2_221:
	s_and_not1_saveexec_b32 s0, s3
	s_delay_alu instid0(SALU_CYCLE_1)
	s_or_b32 exec_lo, exec_lo, s0
                                        ; implicit-def: $vgpr10
                                        ; implicit-def: $vgpr7_vgpr8
.LBB2_222:
	s_and_not1_saveexec_b32 s0, s2
; %bb.223:
	v_cmp_eq_u64_e32 vcc_lo, 0, v[7:8]
	v_or_b32_e32 v9, 0x7f, v10
	s_delay_alu instid0(VALU_DEP_1)
	v_cndmask_b32_e32 v24, v9, v24, vcc_lo
; %bb.224:
	s_or_b32 exec_lo, exec_lo, s0
	v_dual_mul_f32 v7, v14, v23 :: v_dual_mov_b32 v8, 0
	s_mov_b32 s0, 0xc3e00000
	s_delay_alu instid0(VALU_DEP_1) | instid1(SALU_CYCLE_1)
	v_maxmin_f32 v9, v7, s0, 0x43e00000
	s_mov_b32 s0, exec_lo
	s_delay_alu instid0(VALU_DEP_2) | instskip(NEXT) | instid1(VALU_DEP_2)
	v_mov_b32_e32 v31, v8
	v_lshrrev_b32_e32 v10, 24, v9
	v_and_b32_e32 v30, 0x7f800000, v9
	v_and_b32_e32 v7, 0x7fffff, v9
	s_delay_alu instid0(VALU_DEP_3) | instskip(NEXT) | instid1(VALU_DEP_1)
	v_and_b32_e32 v29, 0x80, v10
	v_or_b32_e32 v23, 0x7e, v29
	s_delay_alu instid0(VALU_DEP_4)
	v_cmpx_ne_u64_e32 0x7f800000, v[30:31]
	s_xor_b32 s2, exec_lo, s0
	s_cbranch_execz .LBB2_240
; %bb.225:
	v_dual_mov_b32 v31, v8 :: v_dual_and_b32 v30, 0x7fffffff, v9
	s_mov_b32 s0, exec_lo
	s_delay_alu instid0(VALU_DEP_1)
	v_cmpx_gt_u64_e32 0x43e00001, v[30:31]
	s_xor_b32 s3, exec_lo, s0
	s_cbranch_execz .LBB2_239
; %bb.226:
	v_mov_b32_e32 v23, 0
	s_mov_b32 s4, exec_lo
	v_cmpx_ne_u32_e32 0, v9
	s_cbranch_execz .LBB2_238
; %bb.227:
	v_bfe_u32 v23, v9, 23, 8
	v_or_b32_e32 v31, 0x800000, v7
	s_delay_alu instid0(VALU_DEP_2) | instskip(SKIP_1) | instid1(VALU_DEP_2)
	v_sub_nc_u32_e32 v9, 0x79, v23
	v_cmp_gt_u32_e32 vcc_lo, 0x7a, v23
	v_cndmask_b32_e32 v9, 0, v9, vcc_lo
	v_cmp_eq_u32_e32 vcc_lo, 0, v23
	s_delay_alu instid0(VALU_DEP_2) | instskip(SKIP_1) | instid1(VALU_DEP_2)
	v_cndmask_b32_e64 v30, v9, 0x78, vcc_lo
	v_cndmask_b32_e32 v7, v31, v7, vcc_lo
	v_add_nc_u32_e32 v9, 20, v30
	v_add_nc_u32_e32 v31, 19, v30
	s_delay_alu instid0(VALU_DEP_2) | instskip(NEXT) | instid1(VALU_DEP_1)
	v_lshlrev_b64 v[9:10], v9, -1
	v_not_b32_e32 v33, v9
	s_delay_alu instid0(VALU_DEP_2) | instskip(NEXT) | instid1(VALU_DEP_4)
	v_not_b32_e32 v32, v10
	v_lshlrev_b64 v[9:10], v31, 1
	s_delay_alu instid0(VALU_DEP_3) | instskip(SKIP_1) | instid1(VALU_DEP_4)
	v_and_b32_e32 v31, v7, v33
	v_lshrrev_b64 v[7:8], v30, v[7:8]
	v_and_b32_e32 v32, 0, v32
	s_delay_alu instid0(VALU_DEP_1) | instskip(NEXT) | instid1(VALU_DEP_3)
	v_cmp_eq_u64_e64 s0, v[31:32], v[9:10]
	v_dual_mov_b32 v10, v8 :: v_dual_mov_b32 v9, v7
	s_delay_alu instid0(VALU_DEP_2)
	s_and_saveexec_b32 s5, s0
; %bb.228:
	v_bfe_u32 v9, v7, 20, 1
	s_delay_alu instid0(VALU_DEP_1) | instskip(NEXT) | instid1(VALU_DEP_1)
	v_add_co_u32 v9, s0, v7, v9
	v_add_co_u32 v9, s0, v9, -1
; %bb.229:
	s_or_b32 exec_lo, exec_lo, s5
	v_add_nc_u32_e32 v10, 0xffffff81, v23
	v_lshrrev_b32_e32 v23, 23, v7
	s_delay_alu instid0(VALU_DEP_3) | instskip(SKIP_1) | instid1(VALU_DEP_3)
	v_and_b32_e32 v9, 0xfffff, v9
	s_mov_b32 s0, exec_lo
	v_cndmask_b32_e64 v10, v10, 0xffffff82, vcc_lo
	s_delay_alu instid0(VALU_DEP_2) | instskip(SKIP_1) | instid1(VALU_DEP_3)
	v_add_co_u32 v7, vcc_lo, v9, v7
	v_add_co_ci_u32_e32 v8, vcc_lo, 0, v8, vcc_lo
	v_add3_u32 v10, v30, v10, v23
                                        ; implicit-def: $vgpr9
	s_delay_alu instid0(VALU_DEP_1) | instskip(NEXT) | instid1(VALU_DEP_1)
	v_add_nc_u32_e32 v23, 6, v10
	v_cmpx_ne_u32_e32 0, v23
	s_xor_b32 s0, exec_lo, s0
; %bb.230:
	v_cmp_lt_u64_e32 vcc_lo, 0xffffff, v[7:8]
	v_add_nc_u32_e32 v9, 7, v10
	v_cndmask_b32_e64 v10, 0, 1, vcc_lo
	s_delay_alu instid0(VALU_DEP_2) | instskip(NEXT) | instid1(VALU_DEP_2)
	v_cndmask_b32_e32 v9, v23, v9, vcc_lo
	v_lshrrev_b64 v[7:8], v10, v[7:8]
; %bb.231:
	s_and_not1_saveexec_b32 s0, s0
; %bb.232:
	s_delay_alu instid0(VALU_DEP_1)
	v_bfe_u32 v9, v7, 23, 1
; %bb.233:
	s_or_b32 exec_lo, exec_lo, s0
	s_delay_alu instid0(VALU_DEP_2) | instskip(NEXT) | instid1(VALU_DEP_2)
	v_lshrrev_b64 v[7:8], 20, v[7:8]
	v_cmp_gt_i32_e32 vcc_lo, 16, v9
	v_cmp_ne_u32_e64 s0, 0, v9
                                        ; implicit-def: $vgpr23
	s_delay_alu instid0(VALU_DEP_3) | instskip(NEXT) | instid1(VALU_DEP_1)
	v_dual_cndmask_b32 v8, 0, v8 :: v_dual_cndmask_b32 v7, 7, v7
	v_cmp_ne_u64_e32 vcc_lo, 0, v[7:8]
	s_delay_alu instid0(VALU_DEP_3) | instskip(NEXT) | instid1(SALU_CYCLE_1)
	s_or_b32 s0, s0, vcc_lo
	s_and_saveexec_b32 s5, s0
	s_delay_alu instid0(SALU_CYCLE_1)
	s_xor_b32 s0, exec_lo, s5
; %bb.234:
	v_min_i32_e32 v8, 15, v9
	s_delay_alu instid0(VALU_DEP_1) | instskip(NEXT) | instid1(VALU_DEP_1)
	v_lshl_or_b32 v8, v8, 3, v29
                                        ; implicit-def: $vgpr29
	v_and_or_b32 v23, v7, 7, v8
; %bb.235:
	s_and_not1_saveexec_b32 s0, s0
; %bb.236:
	v_mov_b32_e32 v23, v29
; %bb.237:
	s_or_b32 exec_lo, exec_lo, s0
.LBB2_238:
	s_delay_alu instid0(SALU_CYCLE_1)
	s_or_b32 exec_lo, exec_lo, s4
.LBB2_239:
	s_and_not1_saveexec_b32 s0, s3
	s_delay_alu instid0(SALU_CYCLE_1)
	s_or_b32 exec_lo, exec_lo, s0
                                        ; implicit-def: $vgpr10
                                        ; implicit-def: $vgpr7_vgpr8
.LBB2_240:
	s_and_not1_saveexec_b32 s0, s2
; %bb.241:
	v_cmp_eq_u64_e32 vcc_lo, 0, v[7:8]
	v_or_b32_e32 v9, 0x7f, v10
	s_delay_alu instid0(VALU_DEP_1)
	v_cndmask_b32_e32 v23, v9, v23, vcc_lo
; %bb.242:
	s_or_b32 exec_lo, exec_lo, s0
	v_dual_mul_f32 v7, v14, v22 :: v_dual_mov_b32 v8, 0
	s_mov_b32 s0, 0xc3e00000
	s_delay_alu instid0(VALU_DEP_1) | instid1(SALU_CYCLE_1)
	v_maxmin_f32 v9, v7, s0, 0x43e00000
	s_mov_b32 s0, exec_lo
	s_delay_alu instid0(VALU_DEP_2) | instskip(NEXT) | instid1(VALU_DEP_2)
	v_mov_b32_e32 v31, v8
	v_lshrrev_b32_e32 v10, 24, v9
	v_and_b32_e32 v30, 0x7f800000, v9
	v_and_b32_e32 v7, 0x7fffff, v9
	s_delay_alu instid0(VALU_DEP_3) | instskip(NEXT) | instid1(VALU_DEP_1)
	v_and_b32_e32 v29, 0x80, v10
	v_or_b32_e32 v22, 0x7e, v29
	s_delay_alu instid0(VALU_DEP_4)
	v_cmpx_ne_u64_e32 0x7f800000, v[30:31]
	s_xor_b32 s2, exec_lo, s0
	s_cbranch_execz .LBB2_258
; %bb.243:
	v_dual_mov_b32 v31, v8 :: v_dual_and_b32 v30, 0x7fffffff, v9
	s_mov_b32 s0, exec_lo
	s_delay_alu instid0(VALU_DEP_1)
	v_cmpx_gt_u64_e32 0x43e00001, v[30:31]
	s_xor_b32 s3, exec_lo, s0
	s_cbranch_execz .LBB2_257
; %bb.244:
	v_mov_b32_e32 v22, 0
	s_mov_b32 s4, exec_lo
	v_cmpx_ne_u32_e32 0, v9
	s_cbranch_execz .LBB2_256
; %bb.245:
	v_bfe_u32 v22, v9, 23, 8
	v_or_b32_e32 v31, 0x800000, v7
	s_delay_alu instid0(VALU_DEP_2) | instskip(SKIP_1) | instid1(VALU_DEP_2)
	v_sub_nc_u32_e32 v9, 0x79, v22
	v_cmp_gt_u32_e32 vcc_lo, 0x7a, v22
	v_cndmask_b32_e32 v9, 0, v9, vcc_lo
	v_cmp_eq_u32_e32 vcc_lo, 0, v22
	s_delay_alu instid0(VALU_DEP_2) | instskip(SKIP_1) | instid1(VALU_DEP_2)
	v_cndmask_b32_e64 v30, v9, 0x78, vcc_lo
	v_cndmask_b32_e32 v7, v31, v7, vcc_lo
	v_add_nc_u32_e32 v9, 20, v30
	v_add_nc_u32_e32 v31, 19, v30
	s_delay_alu instid0(VALU_DEP_2) | instskip(NEXT) | instid1(VALU_DEP_1)
	v_lshlrev_b64 v[9:10], v9, -1
	v_not_b32_e32 v33, v9
	s_delay_alu instid0(VALU_DEP_2) | instskip(NEXT) | instid1(VALU_DEP_4)
	v_not_b32_e32 v32, v10
	v_lshlrev_b64 v[9:10], v31, 1
	s_delay_alu instid0(VALU_DEP_3) | instskip(SKIP_1) | instid1(VALU_DEP_4)
	v_and_b32_e32 v31, v7, v33
	v_lshrrev_b64 v[7:8], v30, v[7:8]
	v_and_b32_e32 v32, 0, v32
	s_delay_alu instid0(VALU_DEP_1) | instskip(NEXT) | instid1(VALU_DEP_3)
	v_cmp_eq_u64_e64 s0, v[31:32], v[9:10]
	v_dual_mov_b32 v10, v8 :: v_dual_mov_b32 v9, v7
	s_delay_alu instid0(VALU_DEP_2)
	s_and_saveexec_b32 s5, s0
; %bb.246:
	v_bfe_u32 v9, v7, 20, 1
	s_delay_alu instid0(VALU_DEP_1) | instskip(NEXT) | instid1(VALU_DEP_1)
	v_add_co_u32 v9, s0, v7, v9
	v_add_co_u32 v9, s0, v9, -1
; %bb.247:
	s_or_b32 exec_lo, exec_lo, s5
	v_add_nc_u32_e32 v10, 0xffffff81, v22
	v_lshrrev_b32_e32 v22, 23, v7
	s_delay_alu instid0(VALU_DEP_3) | instskip(SKIP_1) | instid1(VALU_DEP_3)
	v_and_b32_e32 v9, 0xfffff, v9
	s_mov_b32 s0, exec_lo
	v_cndmask_b32_e64 v10, v10, 0xffffff82, vcc_lo
	s_delay_alu instid0(VALU_DEP_2) | instskip(SKIP_1) | instid1(VALU_DEP_3)
	v_add_co_u32 v7, vcc_lo, v9, v7
	v_add_co_ci_u32_e32 v8, vcc_lo, 0, v8, vcc_lo
	v_add3_u32 v10, v30, v10, v22
                                        ; implicit-def: $vgpr9
	s_delay_alu instid0(VALU_DEP_1) | instskip(NEXT) | instid1(VALU_DEP_1)
	v_add_nc_u32_e32 v22, 6, v10
	v_cmpx_ne_u32_e32 0, v22
	s_xor_b32 s0, exec_lo, s0
; %bb.248:
	v_cmp_lt_u64_e32 vcc_lo, 0xffffff, v[7:8]
	v_add_nc_u32_e32 v9, 7, v10
	v_cndmask_b32_e64 v10, 0, 1, vcc_lo
	s_delay_alu instid0(VALU_DEP_2) | instskip(NEXT) | instid1(VALU_DEP_2)
	v_cndmask_b32_e32 v9, v22, v9, vcc_lo
	v_lshrrev_b64 v[7:8], v10, v[7:8]
; %bb.249:
	s_and_not1_saveexec_b32 s0, s0
; %bb.250:
	s_delay_alu instid0(VALU_DEP_1)
	v_bfe_u32 v9, v7, 23, 1
; %bb.251:
	s_or_b32 exec_lo, exec_lo, s0
	s_delay_alu instid0(VALU_DEP_2) | instskip(NEXT) | instid1(VALU_DEP_2)
	v_lshrrev_b64 v[7:8], 20, v[7:8]
	v_cmp_gt_i32_e32 vcc_lo, 16, v9
	v_cmp_ne_u32_e64 s0, 0, v9
                                        ; implicit-def: $vgpr22
	s_delay_alu instid0(VALU_DEP_3) | instskip(NEXT) | instid1(VALU_DEP_1)
	v_dual_cndmask_b32 v8, 0, v8 :: v_dual_cndmask_b32 v7, 7, v7
	v_cmp_ne_u64_e32 vcc_lo, 0, v[7:8]
	s_delay_alu instid0(VALU_DEP_3) | instskip(NEXT) | instid1(SALU_CYCLE_1)
	s_or_b32 s0, s0, vcc_lo
	s_and_saveexec_b32 s5, s0
	s_delay_alu instid0(SALU_CYCLE_1)
	s_xor_b32 s0, exec_lo, s5
; %bb.252:
	v_min_i32_e32 v8, 15, v9
	s_delay_alu instid0(VALU_DEP_1) | instskip(NEXT) | instid1(VALU_DEP_1)
	v_lshl_or_b32 v8, v8, 3, v29
                                        ; implicit-def: $vgpr29
	v_and_or_b32 v22, v7, 7, v8
; %bb.253:
	s_and_not1_saveexec_b32 s0, s0
; %bb.254:
	v_mov_b32_e32 v22, v29
; %bb.255:
	s_or_b32 exec_lo, exec_lo, s0
.LBB2_256:
	s_delay_alu instid0(SALU_CYCLE_1)
	s_or_b32 exec_lo, exec_lo, s4
.LBB2_257:
	s_and_not1_saveexec_b32 s0, s3
	s_delay_alu instid0(SALU_CYCLE_1)
	s_or_b32 exec_lo, exec_lo, s0
                                        ; implicit-def: $vgpr10
                                        ; implicit-def: $vgpr7_vgpr8
.LBB2_258:
	s_and_not1_saveexec_b32 s0, s2
; %bb.259:
	v_cmp_eq_u64_e32 vcc_lo, 0, v[7:8]
	v_or_b32_e32 v9, 0x7f, v10
	s_delay_alu instid0(VALU_DEP_1)
	v_cndmask_b32_e32 v22, v9, v22, vcc_lo
; %bb.260:
	s_or_b32 exec_lo, exec_lo, s0
	v_dual_mul_f32 v7, v14, v21 :: v_dual_mov_b32 v8, 0
	s_mov_b32 s0, 0xc3e00000
	s_delay_alu instid0(VALU_DEP_1) | instid1(SALU_CYCLE_1)
	v_maxmin_f32 v9, v7, s0, 0x43e00000
	s_mov_b32 s0, exec_lo
	s_delay_alu instid0(VALU_DEP_2) | instskip(NEXT) | instid1(VALU_DEP_2)
	v_mov_b32_e32 v31, v8
	v_lshrrev_b32_e32 v10, 24, v9
	v_and_b32_e32 v30, 0x7f800000, v9
	v_and_b32_e32 v7, 0x7fffff, v9
	s_delay_alu instid0(VALU_DEP_3) | instskip(NEXT) | instid1(VALU_DEP_1)
	v_and_b32_e32 v29, 0x80, v10
	v_or_b32_e32 v21, 0x7e, v29
	s_delay_alu instid0(VALU_DEP_4)
	v_cmpx_ne_u64_e32 0x7f800000, v[30:31]
	s_xor_b32 s2, exec_lo, s0
	s_cbranch_execz .LBB2_276
; %bb.261:
	v_dual_mov_b32 v31, v8 :: v_dual_and_b32 v30, 0x7fffffff, v9
	s_mov_b32 s0, exec_lo
	s_delay_alu instid0(VALU_DEP_1)
	v_cmpx_gt_u64_e32 0x43e00001, v[30:31]
	s_xor_b32 s3, exec_lo, s0
	s_cbranch_execz .LBB2_275
; %bb.262:
	v_mov_b32_e32 v21, 0
	s_mov_b32 s4, exec_lo
	v_cmpx_ne_u32_e32 0, v9
	s_cbranch_execz .LBB2_274
; %bb.263:
	v_bfe_u32 v21, v9, 23, 8
	v_or_b32_e32 v31, 0x800000, v7
	s_delay_alu instid0(VALU_DEP_2) | instskip(SKIP_1) | instid1(VALU_DEP_2)
	v_sub_nc_u32_e32 v9, 0x79, v21
	v_cmp_gt_u32_e32 vcc_lo, 0x7a, v21
	v_cndmask_b32_e32 v9, 0, v9, vcc_lo
	v_cmp_eq_u32_e32 vcc_lo, 0, v21
	s_delay_alu instid0(VALU_DEP_2) | instskip(SKIP_1) | instid1(VALU_DEP_2)
	v_cndmask_b32_e64 v30, v9, 0x78, vcc_lo
	v_cndmask_b32_e32 v7, v31, v7, vcc_lo
	v_add_nc_u32_e32 v9, 20, v30
	v_add_nc_u32_e32 v31, 19, v30
	s_delay_alu instid0(VALU_DEP_2) | instskip(NEXT) | instid1(VALU_DEP_1)
	v_lshlrev_b64 v[9:10], v9, -1
	v_not_b32_e32 v33, v9
	s_delay_alu instid0(VALU_DEP_2) | instskip(NEXT) | instid1(VALU_DEP_4)
	v_not_b32_e32 v32, v10
	v_lshlrev_b64 v[9:10], v31, 1
	s_delay_alu instid0(VALU_DEP_3) | instskip(SKIP_1) | instid1(VALU_DEP_4)
	v_and_b32_e32 v31, v7, v33
	v_lshrrev_b64 v[7:8], v30, v[7:8]
	v_and_b32_e32 v32, 0, v32
	s_delay_alu instid0(VALU_DEP_1) | instskip(NEXT) | instid1(VALU_DEP_3)
	v_cmp_eq_u64_e64 s0, v[31:32], v[9:10]
	v_dual_mov_b32 v10, v8 :: v_dual_mov_b32 v9, v7
	s_delay_alu instid0(VALU_DEP_2)
	s_and_saveexec_b32 s5, s0
; %bb.264:
	v_bfe_u32 v9, v7, 20, 1
	s_delay_alu instid0(VALU_DEP_1) | instskip(NEXT) | instid1(VALU_DEP_1)
	v_add_co_u32 v9, s0, v7, v9
	v_add_co_u32 v9, s0, v9, -1
; %bb.265:
	s_or_b32 exec_lo, exec_lo, s5
	v_add_nc_u32_e32 v10, 0xffffff81, v21
	v_lshrrev_b32_e32 v21, 23, v7
	s_delay_alu instid0(VALU_DEP_3) | instskip(SKIP_1) | instid1(VALU_DEP_3)
	v_and_b32_e32 v9, 0xfffff, v9
	s_mov_b32 s0, exec_lo
	v_cndmask_b32_e64 v10, v10, 0xffffff82, vcc_lo
	s_delay_alu instid0(VALU_DEP_2) | instskip(SKIP_1) | instid1(VALU_DEP_3)
	v_add_co_u32 v7, vcc_lo, v9, v7
	v_add_co_ci_u32_e32 v8, vcc_lo, 0, v8, vcc_lo
	v_add3_u32 v10, v30, v10, v21
                                        ; implicit-def: $vgpr9
	s_delay_alu instid0(VALU_DEP_1) | instskip(NEXT) | instid1(VALU_DEP_1)
	v_add_nc_u32_e32 v21, 6, v10
	v_cmpx_ne_u32_e32 0, v21
	s_xor_b32 s0, exec_lo, s0
; %bb.266:
	v_cmp_lt_u64_e32 vcc_lo, 0xffffff, v[7:8]
	v_add_nc_u32_e32 v9, 7, v10
	v_cndmask_b32_e64 v10, 0, 1, vcc_lo
	s_delay_alu instid0(VALU_DEP_2) | instskip(NEXT) | instid1(VALU_DEP_2)
	v_cndmask_b32_e32 v9, v21, v9, vcc_lo
	v_lshrrev_b64 v[7:8], v10, v[7:8]
; %bb.267:
	s_and_not1_saveexec_b32 s0, s0
; %bb.268:
	s_delay_alu instid0(VALU_DEP_1)
	v_bfe_u32 v9, v7, 23, 1
; %bb.269:
	s_or_b32 exec_lo, exec_lo, s0
	s_delay_alu instid0(VALU_DEP_2) | instskip(NEXT) | instid1(VALU_DEP_2)
	v_lshrrev_b64 v[7:8], 20, v[7:8]
	v_cmp_gt_i32_e32 vcc_lo, 16, v9
	v_cmp_ne_u32_e64 s0, 0, v9
                                        ; implicit-def: $vgpr21
	s_delay_alu instid0(VALU_DEP_3) | instskip(NEXT) | instid1(VALU_DEP_1)
	v_dual_cndmask_b32 v8, 0, v8 :: v_dual_cndmask_b32 v7, 7, v7
	v_cmp_ne_u64_e32 vcc_lo, 0, v[7:8]
	s_delay_alu instid0(VALU_DEP_3) | instskip(NEXT) | instid1(SALU_CYCLE_1)
	s_or_b32 s0, s0, vcc_lo
	s_and_saveexec_b32 s5, s0
	s_delay_alu instid0(SALU_CYCLE_1)
	s_xor_b32 s0, exec_lo, s5
; %bb.270:
	v_min_i32_e32 v8, 15, v9
	s_delay_alu instid0(VALU_DEP_1) | instskip(NEXT) | instid1(VALU_DEP_1)
	v_lshl_or_b32 v8, v8, 3, v29
                                        ; implicit-def: $vgpr29
	v_and_or_b32 v21, v7, 7, v8
; %bb.271:
	s_and_not1_saveexec_b32 s0, s0
; %bb.272:
	v_mov_b32_e32 v21, v29
; %bb.273:
	s_or_b32 exec_lo, exec_lo, s0
.LBB2_274:
	s_delay_alu instid0(SALU_CYCLE_1)
	s_or_b32 exec_lo, exec_lo, s4
.LBB2_275:
	s_and_not1_saveexec_b32 s0, s3
	s_delay_alu instid0(SALU_CYCLE_1)
	s_or_b32 exec_lo, exec_lo, s0
                                        ; implicit-def: $vgpr10
                                        ; implicit-def: $vgpr7_vgpr8
.LBB2_276:
	s_and_not1_saveexec_b32 s0, s2
; %bb.277:
	v_cmp_eq_u64_e32 vcc_lo, 0, v[7:8]
	v_or_b32_e32 v9, 0x7f, v10
	s_delay_alu instid0(VALU_DEP_1)
	v_cndmask_b32_e32 v21, v9, v21, vcc_lo
; %bb.278:
	s_or_b32 exec_lo, exec_lo, s0
	v_dual_mul_f32 v7, v14, v16 :: v_dual_mov_b32 v8, 0
	s_mov_b32 s0, 0xc3e00000
	s_delay_alu instid0(VALU_DEP_1) | instid1(SALU_CYCLE_1)
	v_maxmin_f32 v9, v7, s0, 0x43e00000
	s_mov_b32 s0, exec_lo
	s_delay_alu instid0(VALU_DEP_2) | instskip(NEXT) | instid1(VALU_DEP_2)
	v_mov_b32_e32 v31, v8
	v_lshrrev_b32_e32 v10, 24, v9
	v_and_b32_e32 v30, 0x7f800000, v9
	v_and_b32_e32 v7, 0x7fffff, v9
	s_delay_alu instid0(VALU_DEP_3) | instskip(NEXT) | instid1(VALU_DEP_1)
	v_and_b32_e32 v29, 0x80, v10
	v_or_b32_e32 v16, 0x7e, v29
	s_delay_alu instid0(VALU_DEP_4)
	v_cmpx_ne_u64_e32 0x7f800000, v[30:31]
	s_xor_b32 s2, exec_lo, s0
	s_cbranch_execz .LBB2_294
; %bb.279:
	v_dual_mov_b32 v31, v8 :: v_dual_and_b32 v30, 0x7fffffff, v9
	s_mov_b32 s0, exec_lo
	s_delay_alu instid0(VALU_DEP_1)
	v_cmpx_gt_u64_e32 0x43e00001, v[30:31]
	s_xor_b32 s3, exec_lo, s0
	s_cbranch_execz .LBB2_293
; %bb.280:
	v_mov_b32_e32 v16, 0
	s_mov_b32 s4, exec_lo
	v_cmpx_ne_u32_e32 0, v9
	s_cbranch_execz .LBB2_292
; %bb.281:
	v_bfe_u32 v16, v9, 23, 8
	v_or_b32_e32 v31, 0x800000, v7
	s_delay_alu instid0(VALU_DEP_2) | instskip(SKIP_1) | instid1(VALU_DEP_2)
	v_sub_nc_u32_e32 v9, 0x79, v16
	v_cmp_gt_u32_e32 vcc_lo, 0x7a, v16
	v_cndmask_b32_e32 v9, 0, v9, vcc_lo
	v_cmp_eq_u32_e32 vcc_lo, 0, v16
	s_delay_alu instid0(VALU_DEP_2) | instskip(SKIP_1) | instid1(VALU_DEP_2)
	v_cndmask_b32_e64 v30, v9, 0x78, vcc_lo
	v_cndmask_b32_e32 v7, v31, v7, vcc_lo
	v_add_nc_u32_e32 v9, 20, v30
	v_add_nc_u32_e32 v31, 19, v30
	s_delay_alu instid0(VALU_DEP_2) | instskip(NEXT) | instid1(VALU_DEP_1)
	v_lshlrev_b64 v[9:10], v9, -1
	v_not_b32_e32 v33, v9
	s_delay_alu instid0(VALU_DEP_2) | instskip(NEXT) | instid1(VALU_DEP_4)
	v_not_b32_e32 v32, v10
	v_lshlrev_b64 v[9:10], v31, 1
	s_delay_alu instid0(VALU_DEP_3) | instskip(SKIP_1) | instid1(VALU_DEP_4)
	v_and_b32_e32 v31, v7, v33
	v_lshrrev_b64 v[7:8], v30, v[7:8]
	v_and_b32_e32 v32, 0, v32
	s_delay_alu instid0(VALU_DEP_1) | instskip(NEXT) | instid1(VALU_DEP_3)
	v_cmp_eq_u64_e64 s0, v[31:32], v[9:10]
	v_dual_mov_b32 v10, v8 :: v_dual_mov_b32 v9, v7
	s_delay_alu instid0(VALU_DEP_2)
	s_and_saveexec_b32 s5, s0
; %bb.282:
	v_bfe_u32 v9, v7, 20, 1
	s_delay_alu instid0(VALU_DEP_1) | instskip(NEXT) | instid1(VALU_DEP_1)
	v_add_co_u32 v9, s0, v7, v9
	v_add_co_u32 v9, s0, v9, -1
; %bb.283:
	s_or_b32 exec_lo, exec_lo, s5
	v_add_nc_u32_e32 v10, 0xffffff81, v16
	v_lshrrev_b32_e32 v16, 23, v7
	s_delay_alu instid0(VALU_DEP_3) | instskip(SKIP_1) | instid1(VALU_DEP_3)
	v_and_b32_e32 v9, 0xfffff, v9
	s_mov_b32 s0, exec_lo
	v_cndmask_b32_e64 v10, v10, 0xffffff82, vcc_lo
	s_delay_alu instid0(VALU_DEP_2) | instskip(SKIP_1) | instid1(VALU_DEP_3)
	v_add_co_u32 v7, vcc_lo, v9, v7
	v_add_co_ci_u32_e32 v8, vcc_lo, 0, v8, vcc_lo
	v_add3_u32 v10, v30, v10, v16
                                        ; implicit-def: $vgpr9
	s_delay_alu instid0(VALU_DEP_1) | instskip(NEXT) | instid1(VALU_DEP_1)
	v_add_nc_u32_e32 v16, 6, v10
	v_cmpx_ne_u32_e32 0, v16
	s_xor_b32 s0, exec_lo, s0
; %bb.284:
	v_cmp_lt_u64_e32 vcc_lo, 0xffffff, v[7:8]
	v_add_nc_u32_e32 v9, 7, v10
	v_cndmask_b32_e64 v10, 0, 1, vcc_lo
	s_delay_alu instid0(VALU_DEP_2) | instskip(NEXT) | instid1(VALU_DEP_2)
	v_cndmask_b32_e32 v9, v16, v9, vcc_lo
	v_lshrrev_b64 v[7:8], v10, v[7:8]
; %bb.285:
	s_and_not1_saveexec_b32 s0, s0
; %bb.286:
	s_delay_alu instid0(VALU_DEP_1)
	v_bfe_u32 v9, v7, 23, 1
; %bb.287:
	s_or_b32 exec_lo, exec_lo, s0
	s_delay_alu instid0(VALU_DEP_2) | instskip(NEXT) | instid1(VALU_DEP_2)
	v_lshrrev_b64 v[7:8], 20, v[7:8]
	v_cmp_gt_i32_e32 vcc_lo, 16, v9
	v_cmp_ne_u32_e64 s0, 0, v9
                                        ; implicit-def: $vgpr16
	s_delay_alu instid0(VALU_DEP_3) | instskip(NEXT) | instid1(VALU_DEP_1)
	v_dual_cndmask_b32 v8, 0, v8 :: v_dual_cndmask_b32 v7, 7, v7
	v_cmp_ne_u64_e32 vcc_lo, 0, v[7:8]
	s_delay_alu instid0(VALU_DEP_3) | instskip(NEXT) | instid1(SALU_CYCLE_1)
	s_or_b32 s0, s0, vcc_lo
	s_and_saveexec_b32 s5, s0
	s_delay_alu instid0(SALU_CYCLE_1)
	s_xor_b32 s0, exec_lo, s5
; %bb.288:
	v_min_i32_e32 v8, 15, v9
	s_delay_alu instid0(VALU_DEP_1) | instskip(NEXT) | instid1(VALU_DEP_1)
	v_lshl_or_b32 v8, v8, 3, v29
                                        ; implicit-def: $vgpr29
	v_and_or_b32 v16, v7, 7, v8
; %bb.289:
	s_and_not1_saveexec_b32 s0, s0
; %bb.290:
	v_mov_b32_e32 v16, v29
; %bb.291:
	s_or_b32 exec_lo, exec_lo, s0
.LBB2_292:
	s_delay_alu instid0(SALU_CYCLE_1)
	s_or_b32 exec_lo, exec_lo, s4
.LBB2_293:
	s_and_not1_saveexec_b32 s0, s3
	s_delay_alu instid0(SALU_CYCLE_1)
	s_or_b32 exec_lo, exec_lo, s0
                                        ; implicit-def: $vgpr10
                                        ; implicit-def: $vgpr7_vgpr8
.LBB2_294:
	s_and_not1_saveexec_b32 s0, s2
; %bb.295:
	v_cmp_eq_u64_e32 vcc_lo, 0, v[7:8]
	v_or_b32_e32 v9, 0x7f, v10
	s_delay_alu instid0(VALU_DEP_1)
	v_cndmask_b32_e32 v16, v9, v16, vcc_lo
; %bb.296:
	s_or_b32 exec_lo, exec_lo, s0
	v_dual_mul_f32 v7, v14, v13 :: v_dual_mov_b32 v8, 0
	s_mov_b32 s0, 0xc3e00000
	s_delay_alu instid0(VALU_DEP_1) | instid1(SALU_CYCLE_1)
	v_maxmin_f32 v10, v7, s0, 0x43e00000
	s_mov_b32 s0, exec_lo
	s_delay_alu instid0(VALU_DEP_2) | instskip(NEXT) | instid1(VALU_DEP_2)
	v_mov_b32_e32 v30, v8
	v_lshrrev_b32_e32 v14, 24, v10
	v_and_b32_e32 v29, 0x7f800000, v10
	v_and_b32_e32 v7, 0x7fffff, v10
	s_delay_alu instid0(VALU_DEP_3) | instskip(NEXT) | instid1(VALU_DEP_1)
	v_and_b32_e32 v13, 0x80, v14
	v_or_b32_e32 v9, 0x7e, v13
	s_delay_alu instid0(VALU_DEP_4)
	v_cmpx_ne_u64_e32 0x7f800000, v[29:30]
	s_xor_b32 s2, exec_lo, s0
	s_cbranch_execz .LBB2_312
; %bb.297:
	v_dual_mov_b32 v30, v8 :: v_dual_and_b32 v29, 0x7fffffff, v10
	s_mov_b32 s0, exec_lo
	s_delay_alu instid0(VALU_DEP_1)
	v_cmpx_gt_u64_e32 0x43e00001, v[29:30]
	s_xor_b32 s3, exec_lo, s0
	s_cbranch_execz .LBB2_311
; %bb.298:
	v_mov_b32_e32 v9, 0
	s_mov_b32 s4, exec_lo
	v_cmpx_ne_u32_e32 0, v10
	s_cbranch_execz .LBB2_310
; %bb.299:
	v_bfe_u32 v14, v10, 23, 8
	v_or_b32_e32 v30, 0x800000, v7
	s_delay_alu instid0(VALU_DEP_2) | instskip(SKIP_1) | instid1(VALU_DEP_2)
	v_sub_nc_u32_e32 v9, 0x79, v14
	v_cmp_gt_u32_e32 vcc_lo, 0x7a, v14
	v_cndmask_b32_e32 v9, 0, v9, vcc_lo
	v_cmp_eq_u32_e32 vcc_lo, 0, v14
	s_delay_alu instid0(VALU_DEP_2) | instskip(NEXT) | instid1(VALU_DEP_1)
	v_cndmask_b32_e64 v29, v9, 0x78, vcc_lo
	v_dual_cndmask_b32 v7, v30, v7 :: v_dual_add_nc_u32 v30, 19, v29
	v_add_nc_u32_e32 v9, 20, v29
	s_delay_alu instid0(VALU_DEP_1) | instskip(NEXT) | instid1(VALU_DEP_1)
	v_lshlrev_b64 v[9:10], v9, -1
	v_not_b32_e32 v32, v9
	s_delay_alu instid0(VALU_DEP_2) | instskip(SKIP_1) | instid1(VALU_DEP_3)
	v_not_b32_e32 v31, v10
	v_lshlrev_b64 v[9:10], v30, 1
	v_and_b32_e32 v30, v7, v32
	v_lshrrev_b64 v[7:8], v29, v[7:8]
	s_delay_alu instid0(VALU_DEP_4) | instskip(NEXT) | instid1(VALU_DEP_1)
	v_and_b32_e32 v31, 0, v31
	v_cmp_eq_u64_e64 s0, v[30:31], v[9:10]
	s_delay_alu instid0(VALU_DEP_3) | instskip(NEXT) | instid1(VALU_DEP_2)
	v_dual_mov_b32 v10, v8 :: v_dual_mov_b32 v9, v7
	s_and_saveexec_b32 s5, s0
; %bb.300:
	v_bfe_u32 v9, v7, 20, 1
	s_delay_alu instid0(VALU_DEP_1) | instskip(NEXT) | instid1(VALU_DEP_1)
	v_add_co_u32 v9, s0, v7, v9
	v_add_co_u32 v9, s0, v9, -1
; %bb.301:
	s_or_b32 exec_lo, exec_lo, s5
	v_add_nc_u32_e32 v10, 0xffffff81, v14
	v_lshrrev_b32_e32 v14, 23, v7
	s_mov_b32 s0, exec_lo
	s_delay_alu instid0(VALU_DEP_2) | instskip(NEXT) | instid1(VALU_DEP_1)
	v_cndmask_b32_e64 v10, v10, 0xffffff82, vcc_lo
	v_add3_u32 v14, v29, v10, v14
	v_and_b32_e32 v10, 0xfffff, v9
	s_delay_alu instid0(VALU_DEP_2) | instskip(NEXT) | instid1(VALU_DEP_2)
	v_add_nc_u32_e32 v9, 6, v14
	v_add_co_u32 v7, vcc_lo, v10, v7
	v_add_co_ci_u32_e32 v8, vcc_lo, 0, v8, vcc_lo
                                        ; implicit-def: $vgpr10
	s_delay_alu instid0(VALU_DEP_3)
	v_cmpx_ne_u32_e32 0, v9
	s_xor_b32 s0, exec_lo, s0
; %bb.302:
	s_delay_alu instid0(VALU_DEP_2) | instskip(SKIP_1) | instid1(VALU_DEP_1)
	v_cmp_lt_u64_e32 vcc_lo, 0xffffff, v[7:8]
	v_add_nc_u32_e32 v10, 7, v14
	v_cndmask_b32_e32 v10, v9, v10, vcc_lo
	v_cndmask_b32_e64 v9, 0, 1, vcc_lo
	s_delay_alu instid0(VALU_DEP_1)
	v_lshrrev_b64 v[7:8], v9, v[7:8]
; %bb.303:
	s_and_not1_saveexec_b32 s0, s0
; %bb.304:
	s_delay_alu instid0(VALU_DEP_1)
	v_bfe_u32 v10, v7, 23, 1
; %bb.305:
	s_or_b32 exec_lo, exec_lo, s0
	s_delay_alu instid0(VALU_DEP_2) | instskip(NEXT) | instid1(VALU_DEP_2)
	v_lshrrev_b64 v[7:8], 20, v[7:8]
	v_cmp_gt_i32_e32 vcc_lo, 16, v10
	v_cmp_ne_u32_e64 s0, 0, v10
                                        ; implicit-def: $vgpr9
	s_delay_alu instid0(VALU_DEP_3) | instskip(NEXT) | instid1(VALU_DEP_1)
	v_dual_cndmask_b32 v8, 0, v8 :: v_dual_cndmask_b32 v7, 7, v7
	v_cmp_ne_u64_e32 vcc_lo, 0, v[7:8]
	s_delay_alu instid0(VALU_DEP_3) | instskip(NEXT) | instid1(SALU_CYCLE_1)
	s_or_b32 s0, s0, vcc_lo
	s_and_saveexec_b32 s5, s0
	s_delay_alu instid0(SALU_CYCLE_1)
	s_xor_b32 s0, exec_lo, s5
; %bb.306:
	v_min_i32_e32 v8, 15, v10
	s_delay_alu instid0(VALU_DEP_1) | instskip(NEXT) | instid1(VALU_DEP_1)
	v_lshl_or_b32 v8, v8, 3, v13
                                        ; implicit-def: $vgpr13
	v_and_or_b32 v9, v7, 7, v8
; %bb.307:
	s_and_not1_saveexec_b32 s0, s0
; %bb.308:
	v_mov_b32_e32 v9, v13
; %bb.309:
	s_or_b32 exec_lo, exec_lo, s0
.LBB2_310:
	s_delay_alu instid0(SALU_CYCLE_1)
	s_or_b32 exec_lo, exec_lo, s4
.LBB2_311:
	s_and_not1_saveexec_b32 s0, s3
	s_delay_alu instid0(SALU_CYCLE_1)
	s_or_b32 exec_lo, exec_lo, s0
                                        ; implicit-def: $vgpr14
                                        ; implicit-def: $vgpr7_vgpr8
.LBB2_312:
	s_and_not1_saveexec_b32 s0, s2
; %bb.313:
	v_cmp_eq_u64_e32 vcc_lo, 0, v[7:8]
	v_or_b32_e32 v10, 0x7f, v14
	s_delay_alu instid0(VALU_DEP_1)
	v_cndmask_b32_e32 v9, v10, v9, vcc_lo
; %bb.314:
	s_or_b32 exec_lo, exec_lo, s0
	v_mad_i64_i32 v[7:8], null, 0x240, s8, v[3:4]
	v_lshlrev_b64 v[5:6], 3, v[5:6]
	v_lshlrev_b16 v10, 8, v21
	v_and_b32_e32 v13, 0xff, v22
	v_lshlrev_b16 v9, 8, v9
	v_and_b32_e32 v14, 0xff, v16
	v_lshlrev_b16 v16, 8, v26
	v_and_b32_e32 v21, 0xff, v28
	v_add_co_u32 v3, vcc_lo, v7, v5
	v_add_co_ci_u32_e32 v4, vcc_lo, v8, v6, vcc_lo
	v_or_b32_e32 v5, v13, v10
	v_or_b32_e32 v6, v14, v9
	;; [unrolled: 1-line block ×3, first 2 shown]
	v_lshlrev_b16 v8, 8, v23
	v_and_b32_e32 v9, 0xff, v24
	v_lshlrev_b16 v10, 8, v20
	v_and_b32_e32 v13, 0xff, v19
	;; [unrolled: 2-line block ×5, first 2 shown]
	v_or_b32_e32 v8, v9, v8
	v_or_b32_e32 v9, v13, v10
	;; [unrolled: 1-line block ×5, first 2 shown]
	v_and_b32_e32 v5, 0xffff, v5
	v_lshlrev_b32_e32 v6, 16, v6
	v_and_b32_e32 v7, 0xffff, v7
	v_lshlrev_b32_e32 v14, 16, v8
	;; [unrolled: 2-line block ×4, first 2 shown]
	v_add_co_u32 v1, vcc_lo, v1, v37
	v_add_co_ci_u32_e32 v2, vcc_lo, 0, v2, vcc_lo
	v_and_b32_e32 v0, 3, v0
	v_or_b32_e32 v8, v5, v6
	v_or_b32_e32 v7, v7, v14
	;; [unrolled: 1-line block ×4, first 2 shown]
	s_mov_b32 s0, exec_lo
	global_store_b128 v[1:2], v[5:8], off
	v_cmpx_eq_u32_e32 0, v0
	s_cbranch_execz .LBB2_316
; %bb.315:
	v_add_f32_e32 v0, 0x42fe0000, v11
	v_lshrrev_b32_e32 v1, 2, v38
	s_delay_alu instid0(VALU_DEP_2) | instskip(NEXT) | instid1(VALU_DEP_1)
	v_minmax_f32 v0, v0, 0x437f0000, 0
	v_cvt_i32_f32_e32 v2, v0
	s_delay_alu instid0(VALU_DEP_3)
	v_add_co_u32 v0, vcc_lo, v3, v1
	v_add_co_ci_u32_e32 v1, vcc_lo, 0, v4, vcc_lo
	global_store_b8 v[0:1], v2, off
.LBB2_316:
	s_or_b32 exec_lo, exec_lo, s0
	s_delay_alu instid0(SALU_CYCLE_1)
	s_mov_b32 s0, exec_lo
	v_cmpx_eq_u32_e32 0, v38
	s_cbranch_execz .LBB2_318
; %bb.317:
	v_mov_b32_e32 v0, 0
	global_store_b8 v[3:4], v0, off offset:7
.LBB2_318:
	s_or_b32 exec_lo, exec_lo, s0
                                        ; implicit-def: $vgpr37
                                        ; implicit-def: $vgpr34
                                        ; implicit-def: $vgpr35
                                        ; implicit-def: $vgpr36
                                        ; implicit-def: $vgpr39
                                        ; implicit-def: $vgpr40
                                        ; implicit-def: $vgpr41
                                        ; implicit-def: $vgpr7
                                        ; implicit-def: $vgpr43
                                        ; implicit-def: $vgpr8
                                        ; implicit-def: $vgpr9
                                        ; implicit-def: $vgpr10
                                        ; implicit-def: $vgpr11
                                        ; implicit-def: $vgpr12
                                        ; implicit-def: $vgpr14
                                        ; implicit-def: $vgpr15
                                        ; implicit-def: $vgpr44
                                        ; implicit-def: $vgpr1_vgpr2
.LBB2_319:
	s_and_not1_saveexec_b32 s0, s1
	s_cbranch_execz .LBB2_321
; %bb.320:
	v_lshlrev_b32_e32 v0, 1, v37
	v_perm_b32 v3, v43, v7, 0x5040100
	v_perm_b32 v7, v44, v15, 0x5040100
	;; [unrolled: 1-line block ×4, first 2 shown]
	v_add_co_u32 v16, vcc_lo, v1, v0
	v_add_co_ci_u32_e32 v17, vcc_lo, 0, v2, vcc_lo
	v_perm_b32 v2, v41, v40, 0x5040100
	v_perm_b32 v1, v39, v36, 0x5040100
	;; [unrolled: 1-line block ×4, first 2 shown]
	s_clause 0x1
	global_store_b128 v[16:17], v[0:3], off offset:-448
	global_store_b128 v[16:17], v[4:7], off offset:-432
.LBB2_321:
	s_or_b32 exec_lo, exec_lo, s7
                                        ; implicit-def: $vgpr1_vgpr2_vgpr3_vgpr4_vgpr5_vgpr6_vgpr7_vgpr8_vgpr9_vgpr10_vgpr11_vgpr12_vgpr13_vgpr14_vgpr15_vgpr16
                                        ; implicit-def: $vgpr33
                                        ; implicit-def: $vgpr35
                                        ; implicit-def: $vgpr37
	s_and_not1_saveexec_b32 s0, s6
	s_cbranch_execnz .LBB2_14
	s_branch .LBB2_15
	.section	.rodata,"a",@progbits
	.p2align	6, 0x0
	.amdhsa_kernel _ZN4vllm21deepseek_v4_fused_ops47fusedDeepseekV4QNormRopeKVRopeQuantInsertKernelIN3c104HalfELi32EEEvPKT_PS4_S6_PhPKlSA_PKffiiiii
		.amdhsa_group_segment_fixed_size 0
		.amdhsa_private_segment_fixed_size 0
		.amdhsa_kernarg_size 336
		.amdhsa_user_sgpr_count 15
		.amdhsa_user_sgpr_dispatch_ptr 0
		.amdhsa_user_sgpr_queue_ptr 0
		.amdhsa_user_sgpr_kernarg_segment_ptr 1
		.amdhsa_user_sgpr_dispatch_id 0
		.amdhsa_user_sgpr_private_segment_size 0
		.amdhsa_wavefront_size32 1
		.amdhsa_uses_dynamic_stack 0
		.amdhsa_enable_private_segment 0
		.amdhsa_system_sgpr_workgroup_id_x 1
		.amdhsa_system_sgpr_workgroup_id_y 0
		.amdhsa_system_sgpr_workgroup_id_z 0
		.amdhsa_system_sgpr_workgroup_info 0
		.amdhsa_system_vgpr_workitem_id 0
		.amdhsa_next_free_vgpr 49
		.amdhsa_next_free_sgpr 22
		.amdhsa_reserve_vcc 1
		.amdhsa_float_round_mode_32 0
		.amdhsa_float_round_mode_16_64 0
		.amdhsa_float_denorm_mode_32 3
		.amdhsa_float_denorm_mode_16_64 3
		.amdhsa_dx10_clamp 1
		.amdhsa_ieee_mode 1
		.amdhsa_fp16_overflow 0
		.amdhsa_workgroup_processor_mode 1
		.amdhsa_memory_ordered 1
		.amdhsa_forward_progress 0
		.amdhsa_shared_vgpr_count 0
		.amdhsa_exception_fp_ieee_invalid_op 0
		.amdhsa_exception_fp_denorm_src 0
		.amdhsa_exception_fp_ieee_div_zero 0
		.amdhsa_exception_fp_ieee_overflow 0
		.amdhsa_exception_fp_ieee_underflow 0
		.amdhsa_exception_fp_ieee_inexact 0
		.amdhsa_exception_int_div_zero 0
	.end_amdhsa_kernel
	.section	.text._ZN4vllm21deepseek_v4_fused_ops47fusedDeepseekV4QNormRopeKVRopeQuantInsertKernelIN3c104HalfELi32EEEvPKT_PS4_S6_PhPKlSA_PKffiiiii,"axG",@progbits,_ZN4vllm21deepseek_v4_fused_ops47fusedDeepseekV4QNormRopeKVRopeQuantInsertKernelIN3c104HalfELi32EEEvPKT_PS4_S6_PhPKlSA_PKffiiiii,comdat
.Lfunc_end2:
	.size	_ZN4vllm21deepseek_v4_fused_ops47fusedDeepseekV4QNormRopeKVRopeQuantInsertKernelIN3c104HalfELi32EEEvPKT_PS4_S6_PhPKlSA_PKffiiiii, .Lfunc_end2-_ZN4vllm21deepseek_v4_fused_ops47fusedDeepseekV4QNormRopeKVRopeQuantInsertKernelIN3c104HalfELi32EEEvPKT_PS4_S6_PhPKlSA_PKffiiiii
                                        ; -- End function
	.section	.AMDGPU.csdata,"",@progbits
; Kernel info:
; codeLenInByte = 13992
; NumSgprs: 24
; NumVgprs: 49
; ScratchSize: 0
; MemoryBound: 1
; FloatMode: 240
; IeeeMode: 1
; LDSByteSize: 0 bytes/workgroup (compile time only)
; SGPRBlocks: 2
; VGPRBlocks: 6
; NumSGPRsForWavesPerEU: 24
; NumVGPRsForWavesPerEU: 49
; Occupancy: 16
; WaveLimiterHint : 1
; COMPUTE_PGM_RSRC2:SCRATCH_EN: 0
; COMPUTE_PGM_RSRC2:USER_SGPR: 15
; COMPUTE_PGM_RSRC2:TRAP_HANDLER: 0
; COMPUTE_PGM_RSRC2:TGID_X_EN: 1
; COMPUTE_PGM_RSRC2:TGID_Y_EN: 0
; COMPUTE_PGM_RSRC2:TGID_Z_EN: 0
; COMPUTE_PGM_RSRC2:TIDIG_COMP_CNT: 0
	.section	.text._ZN4vllm21deepseek_v4_fused_ops47fusedDeepseekV4QNormRopeKVRopeQuantInsertKernelIN3c104HalfELi64EEEvPKT_PS4_S6_PhPKlSA_PKffiiiii,"axG",@progbits,_ZN4vllm21deepseek_v4_fused_ops47fusedDeepseekV4QNormRopeKVRopeQuantInsertKernelIN3c104HalfELi64EEEvPKT_PS4_S6_PhPKlSA_PKffiiiii,comdat
	.protected	_ZN4vllm21deepseek_v4_fused_ops47fusedDeepseekV4QNormRopeKVRopeQuantInsertKernelIN3c104HalfELi64EEEvPKT_PS4_S6_PhPKlSA_PKffiiiii ; -- Begin function _ZN4vllm21deepseek_v4_fused_ops47fusedDeepseekV4QNormRopeKVRopeQuantInsertKernelIN3c104HalfELi64EEEvPKT_PS4_S6_PhPKlSA_PKffiiiii
	.globl	_ZN4vllm21deepseek_v4_fused_ops47fusedDeepseekV4QNormRopeKVRopeQuantInsertKernelIN3c104HalfELi64EEEvPKT_PS4_S6_PhPKlSA_PKffiiiii
	.p2align	8
	.type	_ZN4vllm21deepseek_v4_fused_ops47fusedDeepseekV4QNormRopeKVRopeQuantInsertKernelIN3c104HalfELi64EEEvPKT_PS4_S6_PhPKlSA_PKffiiiii,@function
_ZN4vllm21deepseek_v4_fused_ops47fusedDeepseekV4QNormRopeKVRopeQuantInsertKernelIN3c104HalfELi64EEEvPKT_PS4_S6_PhPKlSA_PKffiiiii: ; @_ZN4vllm21deepseek_v4_fused_ops47fusedDeepseekV4QNormRopeKVRopeQuantInsertKernelIN3c104HalfELi64EEEvPKT_PS4_S6_PhPKlSA_PKffiiiii
; %bb.0:
	s_clause 0x1
	s_load_b32 s2, s[0:1], 0x5c
	s_load_b128 s[8:11], s[0:1], 0x38
	v_lshrrev_b32_e32 v3, 5, v0
	s_waitcnt lgkmcnt(0)
	s_bfe_u32 s2, s2, 0xb0005
	s_delay_alu instid0(VALU_DEP_1) | instid1(SALU_CYCLE_1)
	v_mad_u64_u32 v[1:2], null, s15, s2, v[3:4]
	s_mov_b32 s2, exec_lo
	s_delay_alu instid0(VALU_DEP_1) | instskip(NEXT) | instid1(VALU_DEP_1)
	v_mul_hi_i32 v2, 0x7e07e07f, v1
	v_lshrrev_b32_e32 v3, 31, v2
	v_ashrrev_i32_e32 v2, 5, v2
	s_delay_alu instid0(VALU_DEP_1) | instskip(NEXT) | instid1(VALU_DEP_1)
	v_add_nc_u32_e32 v33, v2, v3
	v_cmpx_gt_i32_e64 s9, v33
	s_cbranch_execz .LBB3_18
; %bb.1:
	s_load_b64 s[14:15], s[0:1], 0x48
	v_lshl_add_u32 v2, v33, 6, v33
	v_cmp_gt_i32_e64 s3, s10, v33
	s_delay_alu instid0(VALU_DEP_2) | instskip(NEXT) | instid1(VALU_DEP_1)
	v_sub_nc_u32_e32 v35, v1, v2
	v_cmp_ne_u32_e64 s2, 64, v35
	v_cmp_eq_u32_e32 vcc_lo, 64, v35
	s_delay_alu instid0(VALU_DEP_2) | instskip(NEXT) | instid1(SALU_CYCLE_1)
	s_or_b32 s3, s2, s3
	s_and_b32 exec_lo, exec_lo, s3
	s_cbranch_execz .LBB3_18
; %bb.2:
	s_clause 0x2
	s_load_b64 s[12:13], s[0:1], 0x8
	s_load_b128 s[4:7], s[0:1], 0x20
	s_load_b64 s[16:17], s[0:1], 0x30
	v_and_b32_e32 v38, 31, v0
	v_cmp_gt_i32_e64 s3, s11, v35
	v_ashrrev_i32_e32 v34, 31, v33
	s_xor_b32 s9, s2, -1
                                        ; implicit-def: $vgpr7
                                        ; implicit-def: $vgpr15
	s_delay_alu instid0(VALU_DEP_3) | instskip(NEXT) | instid1(VALU_DEP_3)
	v_lshlrev_b32_e32 v37, 4, v38
	s_or_b32 s9, s9, s3
	s_delay_alu instid0(SALU_CYCLE_1)
	s_and_saveexec_b32 s10, s9
	s_cbranch_execz .LBB3_8
; %bb.3:
                                        ; implicit-def: $vgpr1_vgpr2
	s_and_saveexec_b32 s3, vcc_lo
	s_delay_alu instid0(SALU_CYCLE_1)
	s_xor_b32 s18, exec_lo, s3
	s_cbranch_execz .LBB3_5
; %bb.4:
	s_load_b64 s[20:21], s[0:1], 0x10
	v_lshlrev_b64 v[1:2], 10, v[33:34]
	v_lshlrev_b32_e32 v3, 1, v37
	s_waitcnt lgkmcnt(0)
	s_delay_alu instid0(VALU_DEP_2) | instskip(NEXT) | instid1(VALU_DEP_1)
	v_add_co_u32 v1, s3, s20, v1
	v_add_co_ci_u32_e64 v2, s3, s21, v2, s3
	s_delay_alu instid0(VALU_DEP_2) | instskip(NEXT) | instid1(VALU_DEP_1)
	v_add_co_u32 v1, s3, v1, v3
	v_add_co_ci_u32_e64 v2, s3, 0, v2, s3
.LBB3_5:
	s_and_not1_saveexec_b32 s18, s18
	s_cbranch_execz .LBB3_7
; %bb.6:
	v_ashrrev_i32_e32 v36, 31, v35
	s_load_b64 s[20:21], s[0:1], 0x0
	s_delay_alu instid0(VALU_DEP_1) | instskip(NEXT) | instid1(VALU_DEP_1)
	v_mad_i64_i32 v[1:2], null, v33, s11, v[35:36]
	v_lshlrev_b64 v[1:2], 10, v[1:2]
	s_delay_alu instid0(VALU_DEP_1) | instskip(SKIP_1) | instid1(VALU_DEP_1)
	v_lshl_or_b32 v1, v37, 1, v1
	s_waitcnt lgkmcnt(0)
	v_add_co_u32 v1, s3, s20, v1
	s_delay_alu instid0(VALU_DEP_1)
	v_add_co_ci_u32_e64 v2, s3, s21, v2, s3
.LBB3_7:
	s_or_b32 exec_lo, exec_lo, s18
	s_clause 0x1
	global_load_b128 v[12:15], v[1:2], off offset:16
	global_load_b128 v[4:7], v[1:2], off
.LBB3_8:
	s_or_b32 exec_lo, exec_lo, s10
	s_load_b64 s[10:11], s[0:1], 0x18
	s_and_saveexec_b32 s0, s9
	s_delay_alu instid0(SALU_CYCLE_1)
	s_xor_b32 s9, exec_lo, s0
	s_cbranch_execz .LBB3_16
; %bb.9:
	s_waitcnt vmcnt(0)
	v_lshrrev_b32_e32 v8, 16, v5
	v_lshrrev_b32_e32 v9, 16, v6
	;; [unrolled: 1-line block ×3, first 2 shown]
	v_cvt_f32_f16_e32 v1, v4
	v_cvt_f32_f16_e32 v3, v5
	;; [unrolled: 1-line block ×3, first 2 shown]
	v_lshrrev_b32_e32 v8, 16, v7
	v_cvt_f32_f16_e32 v5, v6
	v_cvt_f32_f16_e32 v6, v9
	v_lshrrev_b32_e32 v10, 16, v12
	v_cvt_f32_f16_e32 v9, v12
	v_lshrrev_b32_e32 v12, 16, v13
	v_lshrrev_b32_e32 v16, 16, v14
	;; [unrolled: 1-line block ×3, first 2 shown]
	v_cvt_f32_f16_e32 v2, v2
	v_cvt_f32_f16_e32 v7, v7
	;; [unrolled: 1-line block ×10, first 2 shown]
	s_and_saveexec_b32 s1, s2
	s_cbranch_execz .LBB3_11
; %bb.10:
	v_mbcnt_lo_u32_b32 v18, -1, 0
	s_delay_alu instid0(VALU_DEP_1) | instskip(SKIP_1) | instid1(VALU_DEP_2)
	v_xor_b32_e32 v19, 16, v18
	v_xor_b32_e32 v20, 8, v18
	v_cmp_gt_i32_e64 s0, 32, v19
	s_delay_alu instid0(VALU_DEP_1) | instskip(NEXT) | instid1(VALU_DEP_3)
	v_cndmask_b32_e64 v19, v18, v19, s0
	v_cmp_gt_i32_e64 s0, 32, v20
	s_delay_alu instid0(VALU_DEP_2) | instskip(NEXT) | instid1(VALU_DEP_2)
	v_lshlrev_b32_e32 v19, 2, v19
	v_cndmask_b32_e64 v20, v18, v20, s0
	s_delay_alu instid0(VALU_DEP_1) | instskip(NEXT) | instid1(VALU_DEP_1)
	v_dual_mul_f32 v17, v2, v2 :: v_dual_lshlrev_b32 v20, 2, v20
	v_fmac_f32_e32 v17, v1, v1
	s_delay_alu instid0(VALU_DEP_1) | instskip(NEXT) | instid1(VALU_DEP_1)
	v_fmac_f32_e32 v17, v3, v3
	v_fmac_f32_e32 v17, v4, v4
	s_delay_alu instid0(VALU_DEP_1) | instskip(NEXT) | instid1(VALU_DEP_1)
	v_fmac_f32_e32 v17, v5, v5
	;; [unrolled: 3-line block ×7, first 2 shown]
	v_fmac_f32_e32 v17, v16, v16
	ds_bpermute_b32 v19, v19, v17
	s_waitcnt lgkmcnt(0)
	v_add_f32_e32 v17, v17, v19
	ds_bpermute_b32 v19, v20, v17
	v_xor_b32_e32 v20, 4, v18
	s_delay_alu instid0(VALU_DEP_1) | instskip(NEXT) | instid1(VALU_DEP_1)
	v_cmp_gt_i32_e64 s0, 32, v20
	v_cndmask_b32_e64 v20, v18, v20, s0
	s_waitcnt lgkmcnt(0)
	s_delay_alu instid0(VALU_DEP_1) | instskip(SKIP_2) | instid1(VALU_DEP_1)
	v_dual_add_f32 v17, v17, v19 :: v_dual_lshlrev_b32 v20, 2, v20
	ds_bpermute_b32 v19, v20, v17
	v_xor_b32_e32 v20, 2, v18
	v_cmp_gt_i32_e64 s0, 32, v20
	s_delay_alu instid0(VALU_DEP_1) | instskip(SKIP_1) | instid1(VALU_DEP_1)
	v_cndmask_b32_e64 v20, v18, v20, s0
	s_waitcnt lgkmcnt(0)
	v_dual_add_f32 v17, v17, v19 :: v_dual_lshlrev_b32 v20, 2, v20
	ds_bpermute_b32 v19, v20, v17
	v_xor_b32_e32 v20, 1, v18
	s_delay_alu instid0(VALU_DEP_1) | instskip(NEXT) | instid1(VALU_DEP_1)
	v_cmp_gt_i32_e64 s0, 32, v20
	v_cndmask_b32_e64 v18, v18, v20, s0
	s_waitcnt lgkmcnt(0)
	s_delay_alu instid0(VALU_DEP_1) | instskip(SKIP_4) | instid1(VALU_DEP_1)
	v_dual_add_f32 v17, v17, v19 :: v_dual_lshlrev_b32 v18, 2, v18
	v_mov_b32_e32 v19, s8
	ds_bpermute_b32 v18, v18, v17
	s_waitcnt lgkmcnt(0)
	v_add_f32_e32 v17, v17, v18
	v_fmamk_f32 v17, v17, 0x3b000000, v19
	s_delay_alu instid0(VALU_DEP_1) | instskip(SKIP_1) | instid1(VALU_DEP_1)
	v_mul_f32_e32 v18, 0x4b800000, v17
	v_cmp_gt_f32_e64 s0, 0x800000, v17
	v_cndmask_b32_e64 v17, v17, v18, s0
	s_delay_alu instid0(VALU_DEP_1) | instskip(SKIP_2) | instid1(VALU_DEP_1)
	v_rsq_f32_e32 v17, v17
	s_waitcnt_depctr 0xfff
	v_mul_f32_e32 v18, 0x45800000, v17
	v_cndmask_b32_e64 v17, v17, v18, s0
	s_delay_alu instid0(VALU_DEP_1)
	v_mul_f32_e32 v1, v17, v1
	v_mul_f32_e32 v2, v17, v2
	;; [unrolled: 1-line block ×16, first 2 shown]
.LBB3_11:
	s_or_b32 exec_lo, exec_lo, s1
	v_cmp_gt_u32_e64 s0, 28, v38
	s_mov_b32 s2, exec_lo
	v_cmpx_lt_u32_e32 27, v38
	s_cbranch_execz .LBB3_19
; %bb.12:
	v_lshlrev_b64 v[17:18], 3, v[33:34]
	v_dual_mov_b32 v20, 0 :: v_dual_add_nc_u32 v19, 0xfffffe40, v37
	s_delay_alu instid0(VALU_DEP_1) | instskip(SKIP_1) | instid1(VALU_DEP_3)
	v_lshrrev_b32_e32 v19, 1, v19
	s_waitcnt lgkmcnt(0)
	v_add_co_u32 v17, s1, s6, v17
	s_delay_alu instid0(VALU_DEP_1) | instskip(NEXT) | instid1(VALU_DEP_3)
	v_add_co_ci_u32_e64 v18, s1, s7, v18, s1
	v_lshlrev_b64 v[19:20], 2, v[19:20]
	global_load_b64 v[17:18], v[17:18], off
	s_waitcnt vmcnt(0)
	v_lshlrev_b64 v[17:18], 8, v[17:18]
	s_delay_alu instid0(VALU_DEP_1) | instskip(NEXT) | instid1(VALU_DEP_1)
	v_add_co_u32 v17, s1, s16, v17
	v_add_co_ci_u32_e64 v18, s1, s17, v18, s1
	s_delay_alu instid0(VALU_DEP_2) | instskip(NEXT) | instid1(VALU_DEP_1)
	v_add_co_u32 v17, s1, v17, v19
	v_add_co_ci_u32_e64 v18, s1, v18, v20, s1
	s_clause 0x3
	global_load_b128 v[20:23], v[17:18], off offset:128
	global_load_b128 v[28:31], v[17:18], off offset:144
	global_load_b128 v[39:42], v[17:18], off
	global_load_b128 v[43:46], v[17:18], off offset:16
	s_waitcnt vmcnt(3)
	v_mul_f32_e32 v17, v2, v20
	v_dual_mul_f32 v18, v1, v20 :: v_dual_mul_f32 v19, v4, v21
	v_dual_mul_f32 v20, v3, v21 :: v_dual_mul_f32 v21, v6, v22
	v_mul_f32_e32 v24, v7, v23
	v_dual_mul_f32 v22, v5, v22 :: v_dual_mul_f32 v25, v8, v23
	s_waitcnt vmcnt(2)
	v_dual_mul_f32 v27, v10, v28 :: v_dual_mul_f32 v36, v12, v29
	v_mul_f32_e32 v26, v9, v28
	v_dual_mul_f32 v28, v11, v29 :: v_dual_mul_f32 v47, v16, v31
	v_mul_f32_e32 v29, v14, v30
	v_mul_f32_e32 v30, v13, v30
	;; [unrolled: 1-line block ×3, first 2 shown]
	s_waitcnt vmcnt(1)
	v_fma_f32 v17, v1, v39, -v17
	v_fmac_f32_e32 v18, v2, v39
	v_fma_f32 v19, v3, v40, -v19
	v_fmac_f32_e32 v20, v4, v40
	v_fma_f32 v21, v5, v41, -v21
	v_fmac_f32_e32 v22, v6, v41
	v_fma_f32 v23, v7, v42, -v25
	v_fmac_f32_e32 v24, v8, v42
	s_waitcnt vmcnt(0)
	v_fma_f32 v25, v9, v43, -v27
	v_fmac_f32_e32 v26, v10, v43
	v_fma_f32 v27, v11, v44, -v36
	v_fmac_f32_e32 v28, v12, v44
	;; [unrolled: 2-line block ×4, first 2 shown]
	v_dual_mov_b32 v1, v17 :: v_dual_mov_b32 v2, v18
	v_dual_mov_b32 v3, v19 :: v_dual_mov_b32 v4, v20
	;; [unrolled: 1-line block ×8, first 2 shown]
	s_or_b32 exec_lo, exec_lo, s2
	s_and_saveexec_b32 s1, vcc_lo
	s_delay_alu instid0(SALU_CYCLE_1)
	s_xor_b32 s6, exec_lo, s1
	s_cbranch_execnz .LBB3_20
.LBB3_13:
	s_and_not1_saveexec_b32 s0, s6
	s_cbranch_execz .LBB3_15
.LBB3_14:
	v_cvt_f16_f32_e32 v17, v1
	v_ashrrev_i32_e32 v36, 31, v35
	v_lshlrev_b64 v[0:1], 16, v[33:34]
	s_waitcnt lgkmcnt(0)
	v_cvt_f16_f32_e32 v18, v2
	v_cvt_f16_f32_e32 v19, v3
	;; [unrolled: 1-line block ×3, first 2 shown]
	v_lshlrev_b64 v[2:3], 10, v[35:36]
	v_lshlrev_b32_e32 v8, 1, v37
	v_add_co_u32 v0, vcc_lo, s12, v0
	v_add_co_ci_u32_e32 v1, vcc_lo, s13, v1, vcc_lo
	v_cvt_f16_f32_e32 v4, v4
	s_delay_alu instid0(VALU_DEP_3)
	v_add_co_u32 v0, vcc_lo, v0, v2
	v_cvt_f16_f32_e32 v5, v5
	v_cvt_f16_f32_e32 v6, v6
	;; [unrolled: 1-line block ×3, first 2 shown]
	v_add_co_ci_u32_e32 v1, vcc_lo, v1, v3, vcc_lo
	v_cvt_f16_f32_e32 v21, v9
	v_cvt_f16_f32_e32 v10, v10
	;; [unrolled: 1-line block ×8, first 2 shown]
	v_add_co_u32 v8, vcc_lo, v0, v8
	v_add_co_ci_u32_e32 v9, vcc_lo, 0, v1, vcc_lo
	v_pack_b32_f16 v3, v7, v20
	v_pack_b32_f16 v2, v5, v6
	;; [unrolled: 1-line block ×8, first 2 shown]
	s_clause 0x1
	global_store_b128 v[8:9], v[0:3], off
	global_store_b128 v[8:9], v[4:7], off offset:16
.LBB3_15:
	s_or_b32 exec_lo, exec_lo, s0
                                        ; implicit-def: $vgpr33
                                        ; implicit-def: $vgpr35
                                        ; implicit-def: $vgpr37
.LBB3_16:
	s_and_not1_saveexec_b32 s0, s9
	s_cbranch_execz .LBB3_18
; %bb.17:
	v_ashrrev_i32_e32 v36, 31, v35
	v_lshlrev_b64 v[0:1], 16, v[33:34]
	s_mov_b32 s0, 0
	s_delay_alu instid0(SALU_CYCLE_1) | instskip(NEXT) | instid1(VALU_DEP_2)
	s_mov_b32 s1, s0
	v_lshlrev_b64 v[2:3], 10, v[35:36]
	s_mov_b32 s2, s0
	s_waitcnt lgkmcnt(0)
	v_add_co_u32 v0, vcc_lo, s12, v0
	v_add_co_ci_u32_e32 v1, vcc_lo, s13, v1, vcc_lo
	s_mov_b32 s3, s0
	s_waitcnt vmcnt(0)
	v_lshlrev_b32_e32 v4, 1, v37
	v_add_co_u32 v5, vcc_lo, v0, v2
	v_add_co_ci_u32_e32 v6, vcc_lo, v1, v3, vcc_lo
	v_dual_mov_b32 v0, s0 :: v_dual_mov_b32 v3, s3
	v_mov_b32_e32 v1, s1
	s_delay_alu instid0(VALU_DEP_4)
	v_add_co_u32 v4, vcc_lo, v5, v4
	v_mov_b32_e32 v2, s2
	v_add_co_ci_u32_e32 v5, vcc_lo, 0, v6, vcc_lo
	s_clause 0x1
	global_store_b128 v[4:5], v[0:3], off
	global_store_b128 v[4:5], v[0:3], off offset:16
.LBB3_18:
	s_nop 0
	s_sendmsg sendmsg(MSG_DEALLOC_VGPRS)
	s_endpgm
.LBB3_19:
	s_or_b32 exec_lo, exec_lo, s2
	s_and_saveexec_b32 s1, vcc_lo
	s_waitcnt lgkmcnt(0)
	s_xor_b32 s6, exec_lo, s1
	s_cbranch_execz .LBB3_13
.LBB3_20:
	v_lshlrev_b64 v[17:18], 3, v[33:34]
	s_mov_b32 s7, exec_lo
	s_delay_alu instid0(VALU_DEP_1) | instskip(NEXT) | instid1(VALU_DEP_2)
	v_add_co_u32 v17, vcc_lo, s4, v17
	v_add_co_ci_u32_e32 v18, vcc_lo, s5, v18, vcc_lo
	global_load_b64 v[17:18], v[17:18], off
	s_waitcnt vmcnt(0)
	v_cmpx_lt_i64_e32 -1, v[17:18]
                                        ; implicit-def: $vgpr34
	s_cbranch_execz .LBB3_321
; %bb.21:
	s_ashr_i32 s16, s14, 31
	v_mov_b32_e32 v19, 0
	v_or_b32_e32 v20, s16, v18
	s_mov_b32 s8, s14
	s_delay_alu instid0(VALU_DEP_1) | instskip(SKIP_1) | instid1(SALU_CYCLE_1)
	v_cmp_ne_u64_e32 vcc_lo, 0, v[19:20]
                                        ; implicit-def: $vgpr19_vgpr20
	s_and_saveexec_b32 s1, vcc_lo
	s_xor_b32 s14, exec_lo, s1
	s_cbranch_execz .LBB3_23
; %bb.22:
	s_add_u32 s4, s8, s16
	s_mov_b32 s2, s16
	s_mov_b32 s3, s16
	s_addc_u32 s5, s16, s16
	s_delay_alu instid0(SALU_CYCLE_1) | instskip(NEXT) | instid1(SALU_CYCLE_1)
	s_xor_b64 s[4:5], s[4:5], s[2:3]
	v_cvt_f32_u32_e32 v19, s4
	v_cvt_f32_u32_e32 v20, s5
	s_sub_u32 s1, 0, s4
	s_subb_u32 s17, 0, s5
	s_delay_alu instid0(VALU_DEP_1) | instskip(NEXT) | instid1(VALU_DEP_1)
	v_fmamk_f32 v19, v20, 0x4f800000, v19
	v_rcp_f32_e32 v19, v19
	s_waitcnt_depctr 0xfff
	v_mul_f32_e32 v19, 0x5f7ffffc, v19
	s_delay_alu instid0(VALU_DEP_1) | instskip(NEXT) | instid1(VALU_DEP_1)
	v_mul_f32_e32 v20, 0x2f800000, v19
	v_trunc_f32_e32 v20, v20
	s_delay_alu instid0(VALU_DEP_1) | instskip(SKIP_1) | instid1(VALU_DEP_2)
	v_fmamk_f32 v19, v20, 0xcf800000, v19
	v_cvt_u32_f32_e32 v20, v20
	v_cvt_u32_f32_e32 v19, v19
	s_delay_alu instid0(VALU_DEP_2) | instskip(NEXT) | instid1(VALU_DEP_2)
	v_mul_lo_u32 v21, s1, v20
	v_mul_hi_u32 v22, s1, v19
	v_mul_lo_u32 v23, s17, v19
	s_delay_alu instid0(VALU_DEP_2) | instskip(SKIP_1) | instid1(VALU_DEP_2)
	v_add_nc_u32_e32 v21, v22, v21
	v_mul_lo_u32 v22, s1, v19
	v_add_nc_u32_e32 v21, v21, v23
	s_delay_alu instid0(VALU_DEP_2) | instskip(NEXT) | instid1(VALU_DEP_2)
	v_mul_hi_u32 v23, v19, v22
	v_mul_lo_u32 v24, v19, v21
	v_mul_hi_u32 v25, v19, v21
	v_mul_hi_u32 v26, v20, v22
	v_mul_lo_u32 v22, v20, v22
	v_mul_hi_u32 v27, v20, v21
	v_mul_lo_u32 v21, v20, v21
	v_add_co_u32 v23, vcc_lo, v23, v24
	v_add_co_ci_u32_e32 v24, vcc_lo, 0, v25, vcc_lo
	s_delay_alu instid0(VALU_DEP_2) | instskip(NEXT) | instid1(VALU_DEP_2)
	v_add_co_u32 v22, vcc_lo, v23, v22
	v_add_co_ci_u32_e32 v22, vcc_lo, v24, v26, vcc_lo
	v_add_co_ci_u32_e32 v23, vcc_lo, 0, v27, vcc_lo
	v_ashrrev_i32_e32 v26, 31, v18
	s_delay_alu instid0(VALU_DEP_3) | instskip(NEXT) | instid1(VALU_DEP_3)
	v_add_co_u32 v21, vcc_lo, v22, v21
	v_add_co_ci_u32_e32 v22, vcc_lo, 0, v23, vcc_lo
	s_delay_alu instid0(VALU_DEP_2) | instskip(NEXT) | instid1(VALU_DEP_2)
	v_add_co_u32 v19, vcc_lo, v19, v21
	v_add_co_ci_u32_e32 v20, vcc_lo, v20, v22, vcc_lo
	s_delay_alu instid0(VALU_DEP_2) | instskip(SKIP_1) | instid1(VALU_DEP_3)
	v_mul_hi_u32 v21, s1, v19
	v_mul_lo_u32 v23, s17, v19
	v_mul_lo_u32 v22, s1, v20
	s_delay_alu instid0(VALU_DEP_1) | instskip(SKIP_1) | instid1(VALU_DEP_2)
	v_add_nc_u32_e32 v21, v21, v22
	v_mul_lo_u32 v22, s1, v19
	v_add_nc_u32_e32 v21, v21, v23
	s_delay_alu instid0(VALU_DEP_2) | instskip(NEXT) | instid1(VALU_DEP_2)
	v_mul_hi_u32 v23, v19, v22
	v_mul_lo_u32 v24, v19, v21
	v_mul_hi_u32 v25, v19, v21
	v_mul_hi_u32 v27, v20, v22
	v_mul_lo_u32 v22, v20, v22
	v_mul_hi_u32 v28, v20, v21
	v_mul_lo_u32 v21, v20, v21
	v_add_co_u32 v23, vcc_lo, v23, v24
	v_add_co_ci_u32_e32 v24, vcc_lo, 0, v25, vcc_lo
	s_delay_alu instid0(VALU_DEP_2) | instskip(NEXT) | instid1(VALU_DEP_2)
	v_add_co_u32 v22, vcc_lo, v23, v22
	v_add_co_ci_u32_e32 v22, vcc_lo, v24, v27, vcc_lo
	v_add_co_ci_u32_e32 v23, vcc_lo, 0, v28, vcc_lo
	v_add_co_u32 v24, vcc_lo, v17, v26
	v_add_co_ci_u32_e32 v25, vcc_lo, v18, v26, vcc_lo
	s_delay_alu instid0(VALU_DEP_4) | instskip(NEXT) | instid1(VALU_DEP_4)
	v_add_co_u32 v21, vcc_lo, v22, v21
	v_add_co_ci_u32_e32 v22, vcc_lo, 0, v23, vcc_lo
	s_delay_alu instid0(VALU_DEP_4) | instskip(NEXT) | instid1(VALU_DEP_3)
	v_xor_b32_e32 v27, v24, v26
	v_add_co_u32 v23, vcc_lo, v19, v21
	s_delay_alu instid0(VALU_DEP_3) | instskip(SKIP_1) | instid1(VALU_DEP_3)
	v_add_co_ci_u32_e32 v28, vcc_lo, v20, v22, vcc_lo
	v_xor_b32_e32 v25, v25, v26
	v_mul_hi_u32 v29, v27, v23
	s_delay_alu instid0(VALU_DEP_3) | instskip(NEXT) | instid1(VALU_DEP_3)
	v_mad_u64_u32 v[19:20], null, v27, v28, 0
	v_mad_u64_u32 v[21:22], null, v25, v23, 0
	;; [unrolled: 1-line block ×3, first 2 shown]
	s_delay_alu instid0(VALU_DEP_3) | instskip(NEXT) | instid1(VALU_DEP_4)
	v_add_co_u32 v19, vcc_lo, v29, v19
	v_add_co_ci_u32_e32 v20, vcc_lo, 0, v20, vcc_lo
	s_delay_alu instid0(VALU_DEP_2) | instskip(NEXT) | instid1(VALU_DEP_2)
	v_add_co_u32 v19, vcc_lo, v19, v21
	v_add_co_ci_u32_e32 v19, vcc_lo, v20, v22, vcc_lo
	v_add_co_ci_u32_e32 v20, vcc_lo, 0, v24, vcc_lo
	s_delay_alu instid0(VALU_DEP_2) | instskip(NEXT) | instid1(VALU_DEP_2)
	v_add_co_u32 v21, vcc_lo, v19, v23
	v_add_co_ci_u32_e32 v22, vcc_lo, 0, v20, vcc_lo
	s_delay_alu instid0(VALU_DEP_2) | instskip(SKIP_1) | instid1(VALU_DEP_3)
	v_mul_lo_u32 v23, s5, v21
	v_mad_u64_u32 v[19:20], null, s4, v21, 0
	v_mul_lo_u32 v24, s4, v22
	s_delay_alu instid0(VALU_DEP_2) | instskip(NEXT) | instid1(VALU_DEP_2)
	v_sub_co_u32 v19, vcc_lo, v27, v19
	v_add3_u32 v20, v20, v24, v23
	s_delay_alu instid0(VALU_DEP_1) | instskip(NEXT) | instid1(VALU_DEP_1)
	v_sub_nc_u32_e32 v23, v25, v20
	v_subrev_co_ci_u32_e64 v23, s1, s5, v23, vcc_lo
	v_add_co_u32 v24, s1, v21, 2
	s_delay_alu instid0(VALU_DEP_1) | instskip(SKIP_3) | instid1(VALU_DEP_3)
	v_add_co_ci_u32_e64 v27, s1, 0, v22, s1
	v_sub_co_u32 v28, s1, v19, s4
	v_sub_co_ci_u32_e32 v20, vcc_lo, v25, v20, vcc_lo
	v_subrev_co_ci_u32_e64 v23, s1, 0, v23, s1
	v_cmp_le_u32_e32 vcc_lo, s4, v28
	s_delay_alu instid0(VALU_DEP_3) | instskip(SKIP_1) | instid1(VALU_DEP_4)
	v_cmp_eq_u32_e64 s1, s5, v20
	v_cndmask_b32_e64 v25, 0, -1, vcc_lo
	v_cmp_le_u32_e32 vcc_lo, s5, v23
	v_cndmask_b32_e64 v28, 0, -1, vcc_lo
	v_cmp_le_u32_e32 vcc_lo, s4, v19
	;; [unrolled: 2-line block ×3, first 2 shown]
	v_cndmask_b32_e64 v29, 0, -1, vcc_lo
	v_cmp_eq_u32_e32 vcc_lo, s5, v23
	s_delay_alu instid0(VALU_DEP_2) | instskip(SKIP_3) | instid1(VALU_DEP_3)
	v_cndmask_b32_e64 v19, v29, v19, s1
	v_cndmask_b32_e32 v23, v28, v25, vcc_lo
	v_add_co_u32 v25, vcc_lo, v21, 1
	v_add_co_ci_u32_e32 v28, vcc_lo, 0, v22, vcc_lo
	v_cmp_ne_u32_e32 vcc_lo, 0, v23
	s_delay_alu instid0(VALU_DEP_2) | instskip(SKIP_2) | instid1(VALU_DEP_3)
	v_dual_cndmask_b32 v20, v28, v27 :: v_dual_cndmask_b32 v23, v25, v24
	v_cmp_ne_u32_e32 vcc_lo, 0, v19
	v_xor_b32_e32 v19, s2, v26
	v_dual_cndmask_b32 v21, v21, v23 :: v_dual_cndmask_b32 v20, v22, v20
	v_xor_b32_e32 v22, s3, v26
	s_delay_alu instid0(VALU_DEP_2) | instskip(NEXT) | instid1(VALU_DEP_2)
	v_xor_b32_e32 v21, v21, v19
	v_xor_b32_e32 v20, v20, v22
	s_delay_alu instid0(VALU_DEP_2) | instskip(NEXT) | instid1(VALU_DEP_2)
	v_sub_co_u32 v19, vcc_lo, v21, v19
	v_sub_co_ci_u32_e32 v20, vcc_lo, v20, v22, vcc_lo
.LBB3_23:
	s_and_not1_saveexec_b32 s1, s14
	s_cbranch_execz .LBB3_25
; %bb.24:
	v_cvt_f32_u32_e32 v19, s8
	s_sub_i32 s2, 0, s8
	s_delay_alu instid0(VALU_DEP_1) | instskip(SKIP_2) | instid1(VALU_DEP_1)
	v_rcp_iflag_f32_e32 v19, v19
	s_waitcnt_depctr 0xfff
	v_mul_f32_e32 v19, 0x4f7ffffe, v19
	v_cvt_u32_f32_e32 v19, v19
	s_delay_alu instid0(VALU_DEP_1) | instskip(NEXT) | instid1(VALU_DEP_1)
	v_mul_lo_u32 v20, s2, v19
	v_mul_hi_u32 v20, v19, v20
	s_delay_alu instid0(VALU_DEP_1) | instskip(NEXT) | instid1(VALU_DEP_1)
	v_add_nc_u32_e32 v19, v19, v20
	v_mul_hi_u32 v19, v17, v19
	s_delay_alu instid0(VALU_DEP_1) | instskip(SKIP_1) | instid1(VALU_DEP_2)
	v_mul_lo_u32 v20, v19, s8
	v_add_nc_u32_e32 v21, 1, v19
	v_sub_nc_u32_e32 v20, v17, v20
	s_delay_alu instid0(VALU_DEP_1) | instskip(SKIP_1) | instid1(VALU_DEP_2)
	v_subrev_nc_u32_e32 v22, s8, v20
	v_cmp_le_u32_e32 vcc_lo, s8, v20
	v_dual_cndmask_b32 v20, v20, v22 :: v_dual_cndmask_b32 v19, v19, v21
	s_delay_alu instid0(VALU_DEP_1) | instskip(NEXT) | instid1(VALU_DEP_2)
	v_cmp_le_u32_e32 vcc_lo, s8, v20
	v_dual_mov_b32 v20, 0 :: v_dual_add_nc_u32 v21, 1, v19
	s_delay_alu instid0(VALU_DEP_1)
	v_cndmask_b32_e32 v19, v19, v21, vcc_lo
.LBB3_25:
	s_or_b32 exec_lo, exec_lo, s1
	v_cvt_f16_f32_e32 v34, v1
	v_cvt_f16_f32_e32 v35, v2
	;; [unrolled: 1-line block ×5, first 2 shown]
	v_cvt_f32_f16_e32 v42, v34
	v_cvt_f32_f16_e32 v33, v35
	v_cvt_f32_f16_e32 v32, v36
	v_cvt_f32_f16_e32 v31, v39
	v_cvt_f16_f32_e32 v41, v6
	v_cvt_f32_f16_e32 v30, v40
	v_max3_f32 v1, |v42|, 0, |v33|
	v_cvt_f16_f32_e32 v7, v7
	v_cvt_f16_f32_e32 v43, v8
	v_cvt_f32_f16_e32 v29, v41
	v_cvt_f16_f32_e32 v8, v9
	v_max3_f32 v1, v1, |v32|, |v31|
	v_cvt_f32_f16_e32 v25, v7
	v_cvt_f32_f16_e32 v27, v43
	v_cvt_f16_f32_e32 v9, v10
	v_cvt_f32_f16_e32 v28, v8
	v_max3_f32 v1, v1, |v30|, |v29|
	v_cvt_f16_f32_e32 v10, v11
	v_cvt_f16_f32_e32 v11, v12
	v_cvt_f32_f16_e32 v26, v9
	v_mbcnt_lo_u32_b32 v5, -1, 0
	v_max3_f32 v1, v1, |v25|, |v27|
	v_cvt_f16_f32_e32 v12, v13
	v_cvt_f32_f16_e32 v24, v10
	v_cvt_f32_f16_e32 v23, v11
	v_cvt_f16_f32_e32 v14, v14
	v_max3_f32 v1, v1, |v28|, |v26|
	v_xor_b32_e32 v2, 1, v5
	v_cvt_f32_f16_e32 v22, v12
	v_cvt_f16_f32_e32 v15, v15
	v_cvt_f16_f32_e32 v44, v16
	v_cvt_f32_f16_e32 v21, v14
	v_max3_f32 v1, v1, |v24|, |v23|
	v_cmp_gt_i32_e32 vcc_lo, 32, v2
	v_cvt_f32_f16_e32 v16, v15
	v_cvt_f32_f16_e32 v13, v44
	v_xor_b32_e32 v48, 2, v5
	v_max3_f32 v1, v1, |v22|, |v21|
	v_cndmask_b32_e32 v2, v5, v2, vcc_lo
	s_ashr_i32 s1, s15, 31
	v_mul_lo_u32 v6, v20, s8
	v_cmp_gt_i32_e32 vcc_lo, 32, v48
	v_max3_f32 v45, v1, |v16|, |v13|
	v_lshlrev_b32_e32 v2, 2, v2
	v_mul_lo_u32 v46, v19, s16
	v_mad_u64_u32 v[3:4], null, v19, s15, s[10:11]
	v_mul_lo_u32 v20, v20, s15
	ds_bpermute_b32 v47, v2, v45
	v_mad_u64_u32 v[1:2], null, v19, s8, 0
	v_mul_lo_u32 v19, v19, s1
	s_delay_alu instid0(VALU_DEP_2) | instskip(NEXT) | instid1(VALU_DEP_2)
	v_add3_u32 v2, v2, v46, v6
	v_add3_u32 v4, v20, v4, v19
	v_cndmask_b32_e32 v19, v5, v48, vcc_lo
	v_sub_co_u32 v5, vcc_lo, v17, v1
	s_delay_alu instid0(VALU_DEP_4) | instskip(NEXT) | instid1(VALU_DEP_3)
	v_sub_co_ci_u32_e32 v6, vcc_lo, v18, v2, vcc_lo
	v_lshlrev_b32_e32 v18, 2, v19
	s_delay_alu instid0(VALU_DEP_3) | instskip(SKIP_2) | instid1(VALU_DEP_1)
	v_mad_u64_u32 v[1:2], null, 0x240, v5, v[3:4]
	s_waitcnt lgkmcnt(0)
	v_max_f32_e32 v17, v47, v47
	v_max_f32_e32 v17, v45, v17
	s_delay_alu instid0(VALU_DEP_3) | instskip(SKIP_3) | instid1(SALU_CYCLE_1)
	v_mad_u64_u32 v[19:20], null, 0x240, v6, v[2:3]
	ds_bpermute_b32 v18, v18, v17
	v_mov_b32_e32 v2, v19
	s_and_saveexec_b32 s1, s0
	s_xor_b32 s1, exec_lo, s1
	s_cbranch_execz .LBB3_319
; %bb.26:
	s_waitcnt lgkmcnt(0)
	v_max3_f32 v7, v17, v18, 0x38d1b717
	s_mov_b32 s0, 0xc3e00000
	s_delay_alu instid0(VALU_DEP_1) | instskip(SKIP_1) | instid1(VALU_DEP_2)
	v_div_scale_f32 v8, null, 0x43e00000, 0x43e00000, v7
	v_div_scale_f32 v11, vcc_lo, v7, 0x43e00000, v7
	v_rcp_f32_e32 v9, v8
	s_waitcnt_depctr 0xfff
	v_fma_f32 v10, -v8, v9, 1.0
	s_delay_alu instid0(VALU_DEP_1) | instskip(NEXT) | instid1(VALU_DEP_1)
	v_fmac_f32_e32 v9, v10, v9
	v_mul_f32_e32 v10, v11, v9
	s_delay_alu instid0(VALU_DEP_1) | instskip(NEXT) | instid1(VALU_DEP_1)
	v_fma_f32 v12, -v8, v10, v11
	v_fmac_f32_e32 v10, v12, v9
	s_delay_alu instid0(VALU_DEP_1) | instskip(NEXT) | instid1(VALU_DEP_1)
	v_fma_f32 v8, -v8, v10, v11
	v_div_fmas_f32 v8, v8, v9, v10
	s_delay_alu instid0(VALU_DEP_1) | instskip(NEXT) | instid1(VALU_DEP_1)
	v_div_fixup_f32 v7, v8, 0x43e00000, v7
	v_cmp_gt_f32_e32 vcc_lo, 0x800000, v7
	v_cndmask_b32_e64 v8, 1.0, 0x4f800000, vcc_lo
	s_delay_alu instid0(VALU_DEP_1) | instskip(SKIP_1) | instid1(VALU_DEP_2)
	v_mul_f32_e32 v7, v7, v8
	v_cndmask_b32_e64 v8, 0, 0x42000000, vcc_lo
	v_log_f32_e32 v7, v7
	s_waitcnt_depctr 0xfff
	v_sub_f32_e32 v7, v7, v8
	s_delay_alu instid0(VALU_DEP_1) | instskip(NEXT) | instid1(VALU_DEP_1)
	v_ceil_f32_e32 v11, v7
	v_cmp_lt_f32_e32 vcc_lo, 0x42fc0000, v11
	v_cndmask_b32_e64 v7, 0, 0x42800000, vcc_lo
	v_cndmask_b32_e64 v8, 1.0, 0x1f800000, vcc_lo
	s_delay_alu instid0(VALU_DEP_2) | instskip(NEXT) | instid1(VALU_DEP_1)
	v_sub_f32_e32 v7, v7, v11
	v_exp_f32_e32 v7, v7
	s_waitcnt_depctr 0xfff
	v_mul_f32_e32 v14, v7, v8
	s_delay_alu instid0(VALU_DEP_1) | instskip(NEXT) | instid1(VALU_DEP_1)
	v_dual_mov_b32 v8, 0 :: v_dual_mul_f32 v7, v14, v42
	v_mov_b32_e32 v18, v8
	s_delay_alu instid0(VALU_DEP_2) | instskip(SKIP_1) | instid1(VALU_DEP_1)
	v_maxmin_f32 v9, v7, s0, 0x43e00000
	s_mov_b32 s0, exec_lo
	v_lshrrev_b32_e32 v10, 24, v9
	v_and_b32_e32 v17, 0x7f800000, v9
	v_and_b32_e32 v7, 0x7fffff, v9
	s_delay_alu instid0(VALU_DEP_3) | instskip(NEXT) | instid1(VALU_DEP_1)
	v_and_b32_e32 v15, 0x80, v10
	v_or_b32_e32 v12, 0x7e, v15
	s_delay_alu instid0(VALU_DEP_4)
	v_cmpx_ne_u64_e32 0x7f800000, v[17:18]
	s_xor_b32 s2, exec_lo, s0
	s_cbranch_execz .LBB3_42
; %bb.27:
	v_dual_mov_b32 v18, v8 :: v_dual_and_b32 v17, 0x7fffffff, v9
	s_mov_b32 s0, exec_lo
	s_delay_alu instid0(VALU_DEP_1)
	v_cmpx_gt_u64_e32 0x43e00001, v[17:18]
	s_xor_b32 s3, exec_lo, s0
	s_cbranch_execz .LBB3_41
; %bb.28:
	v_mov_b32_e32 v12, 0
	s_mov_b32 s4, exec_lo
	v_cmpx_ne_u32_e32 0, v9
	s_cbranch_execz .LBB3_40
; %bb.29:
	v_bfe_u32 v12, v9, 23, 8
	v_or_b32_e32 v18, 0x800000, v7
	s_delay_alu instid0(VALU_DEP_2) | instskip(SKIP_1) | instid1(VALU_DEP_2)
	v_sub_nc_u32_e32 v9, 0x79, v12
	v_cmp_gt_u32_e32 vcc_lo, 0x7a, v12
	v_cndmask_b32_e32 v9, 0, v9, vcc_lo
	v_cmp_eq_u32_e32 vcc_lo, 0, v12
	s_delay_alu instid0(VALU_DEP_2) | instskip(NEXT) | instid1(VALU_DEP_1)
	v_cndmask_b32_e64 v17, v9, 0x78, vcc_lo
	v_dual_cndmask_b32 v7, v18, v7 :: v_dual_add_nc_u32 v18, 19, v17
	v_add_nc_u32_e32 v9, 20, v17
	s_delay_alu instid0(VALU_DEP_1) | instskip(NEXT) | instid1(VALU_DEP_1)
	v_lshlrev_b64 v[9:10], v9, -1
	v_not_b32_e32 v20, v9
	s_delay_alu instid0(VALU_DEP_2) | instskip(SKIP_1) | instid1(VALU_DEP_3)
	v_not_b32_e32 v19, v10
	v_lshlrev_b64 v[9:10], v18, 1
	v_and_b32_e32 v18, v7, v20
	v_lshrrev_b64 v[7:8], v17, v[7:8]
	s_delay_alu instid0(VALU_DEP_4) | instskip(NEXT) | instid1(VALU_DEP_1)
	v_and_b32_e32 v19, 0, v19
	v_cmp_eq_u64_e64 s0, v[18:19], v[9:10]
	s_delay_alu instid0(VALU_DEP_3) | instskip(NEXT) | instid1(VALU_DEP_2)
	v_dual_mov_b32 v10, v8 :: v_dual_mov_b32 v9, v7
	s_and_saveexec_b32 s5, s0
; %bb.30:
	v_bfe_u32 v9, v7, 20, 1
	s_delay_alu instid0(VALU_DEP_1) | instskip(NEXT) | instid1(VALU_DEP_1)
	v_add_co_u32 v9, s0, v7, v9
	v_add_co_u32 v9, s0, v9, -1
; %bb.31:
	s_or_b32 exec_lo, exec_lo, s5
	v_add_nc_u32_e32 v10, 0xffffff81, v12
	v_lshrrev_b32_e32 v12, 23, v7
	s_delay_alu instid0(VALU_DEP_3) | instskip(SKIP_1) | instid1(VALU_DEP_3)
	v_and_b32_e32 v9, 0xfffff, v9
	s_mov_b32 s0, exec_lo
	v_cndmask_b32_e64 v10, v10, 0xffffff82, vcc_lo
	s_delay_alu instid0(VALU_DEP_2) | instskip(SKIP_1) | instid1(VALU_DEP_3)
	v_add_co_u32 v7, vcc_lo, v9, v7
	v_add_co_ci_u32_e32 v8, vcc_lo, 0, v8, vcc_lo
	v_add3_u32 v10, v17, v10, v12
                                        ; implicit-def: $vgpr9
	s_delay_alu instid0(VALU_DEP_1) | instskip(NEXT) | instid1(VALU_DEP_1)
	v_add_nc_u32_e32 v12, 6, v10
	v_cmpx_ne_u32_e32 0, v12
	s_xor_b32 s0, exec_lo, s0
; %bb.32:
	v_cmp_lt_u64_e32 vcc_lo, 0xffffff, v[7:8]
	v_add_nc_u32_e32 v9, 7, v10
	v_cndmask_b32_e64 v10, 0, 1, vcc_lo
	s_delay_alu instid0(VALU_DEP_2) | instskip(NEXT) | instid1(VALU_DEP_2)
	v_cndmask_b32_e32 v9, v12, v9, vcc_lo
	v_lshrrev_b64 v[7:8], v10, v[7:8]
; %bb.33:
	s_and_not1_saveexec_b32 s0, s0
; %bb.34:
	s_delay_alu instid0(VALU_DEP_1)
	v_bfe_u32 v9, v7, 23, 1
; %bb.35:
	s_or_b32 exec_lo, exec_lo, s0
	s_delay_alu instid0(VALU_DEP_2) | instskip(NEXT) | instid1(VALU_DEP_2)
	v_lshrrev_b64 v[7:8], 20, v[7:8]
	v_cmp_gt_i32_e32 vcc_lo, 16, v9
	v_cmp_ne_u32_e64 s0, 0, v9
                                        ; implicit-def: $vgpr12
	s_delay_alu instid0(VALU_DEP_3) | instskip(NEXT) | instid1(VALU_DEP_1)
	v_dual_cndmask_b32 v8, 0, v8 :: v_dual_cndmask_b32 v7, 7, v7
	v_cmp_ne_u64_e32 vcc_lo, 0, v[7:8]
	s_delay_alu instid0(VALU_DEP_3) | instskip(NEXT) | instid1(SALU_CYCLE_1)
	s_or_b32 s0, s0, vcc_lo
	s_and_saveexec_b32 s5, s0
	s_delay_alu instid0(SALU_CYCLE_1)
	s_xor_b32 s0, exec_lo, s5
; %bb.36:
	v_min_i32_e32 v8, 15, v9
	s_delay_alu instid0(VALU_DEP_1) | instskip(NEXT) | instid1(VALU_DEP_1)
	v_lshl_or_b32 v8, v8, 3, v15
                                        ; implicit-def: $vgpr15
	v_and_or_b32 v12, v7, 7, v8
; %bb.37:
	s_and_not1_saveexec_b32 s0, s0
; %bb.38:
	v_mov_b32_e32 v12, v15
; %bb.39:
	s_or_b32 exec_lo, exec_lo, s0
.LBB3_40:
	s_delay_alu instid0(SALU_CYCLE_1)
	s_or_b32 exec_lo, exec_lo, s4
.LBB3_41:
	s_and_not1_saveexec_b32 s0, s3
	s_delay_alu instid0(SALU_CYCLE_1)
	s_or_b32 exec_lo, exec_lo, s0
                                        ; implicit-def: $vgpr10
                                        ; implicit-def: $vgpr7_vgpr8
.LBB3_42:
	s_and_not1_saveexec_b32 s0, s2
; %bb.43:
	v_cmp_eq_u64_e32 vcc_lo, 0, v[7:8]
	v_or_b32_e32 v9, 0x7f, v10
	s_delay_alu instid0(VALU_DEP_1)
	v_cndmask_b32_e32 v12, v9, v12, vcc_lo
; %bb.44:
	s_or_b32 exec_lo, exec_lo, s0
	v_dual_mul_f32 v7, v14, v33 :: v_dual_mov_b32 v8, 0
	s_mov_b32 s0, 0xc3e00000
	s_delay_alu instid0(VALU_DEP_1) | instid1(SALU_CYCLE_1)
	v_maxmin_f32 v9, v7, s0, 0x43e00000
	s_mov_b32 s0, exec_lo
	s_delay_alu instid0(VALU_DEP_2) | instskip(NEXT) | instid1(VALU_DEP_2)
	v_mov_b32_e32 v19, v8
	v_lshrrev_b32_e32 v10, 24, v9
	v_and_b32_e32 v18, 0x7f800000, v9
	v_and_b32_e32 v7, 0x7fffff, v9
	s_delay_alu instid0(VALU_DEP_3) | instskip(NEXT) | instid1(VALU_DEP_1)
	v_and_b32_e32 v17, 0x80, v10
	v_or_b32_e32 v15, 0x7e, v17
	s_delay_alu instid0(VALU_DEP_4)
	v_cmpx_ne_u64_e32 0x7f800000, v[18:19]
	s_xor_b32 s2, exec_lo, s0
	s_cbranch_execz .LBB3_60
; %bb.45:
	v_dual_mov_b32 v19, v8 :: v_dual_and_b32 v18, 0x7fffffff, v9
	s_mov_b32 s0, exec_lo
	s_delay_alu instid0(VALU_DEP_1)
	v_cmpx_gt_u64_e32 0x43e00001, v[18:19]
	s_xor_b32 s3, exec_lo, s0
	s_cbranch_execz .LBB3_59
; %bb.46:
	v_mov_b32_e32 v15, 0
	s_mov_b32 s4, exec_lo
	v_cmpx_ne_u32_e32 0, v9
	s_cbranch_execz .LBB3_58
; %bb.47:
	v_bfe_u32 v15, v9, 23, 8
	v_or_b32_e32 v19, 0x800000, v7
	s_delay_alu instid0(VALU_DEP_2) | instskip(SKIP_1) | instid1(VALU_DEP_2)
	v_sub_nc_u32_e32 v9, 0x79, v15
	v_cmp_gt_u32_e32 vcc_lo, 0x7a, v15
	v_cndmask_b32_e32 v9, 0, v9, vcc_lo
	v_cmp_eq_u32_e32 vcc_lo, 0, v15
	s_delay_alu instid0(VALU_DEP_2) | instskip(SKIP_1) | instid1(VALU_DEP_2)
	v_cndmask_b32_e64 v18, v9, 0x78, vcc_lo
	v_cndmask_b32_e32 v7, v19, v7, vcc_lo
	v_add_nc_u32_e32 v9, 20, v18
	v_add_nc_u32_e32 v19, 19, v18
	s_delay_alu instid0(VALU_DEP_2) | instskip(NEXT) | instid1(VALU_DEP_1)
	v_lshlrev_b64 v[9:10], v9, -1
	v_not_b32_e32 v33, v9
	s_delay_alu instid0(VALU_DEP_2) | instskip(NEXT) | instid1(VALU_DEP_4)
	v_not_b32_e32 v20, v10
	v_lshlrev_b64 v[9:10], v19, 1
	s_delay_alu instid0(VALU_DEP_3) | instskip(SKIP_1) | instid1(VALU_DEP_4)
	v_and_b32_e32 v19, v7, v33
	v_lshrrev_b64 v[7:8], v18, v[7:8]
	v_and_b32_e32 v20, 0, v20
	s_delay_alu instid0(VALU_DEP_1) | instskip(NEXT) | instid1(VALU_DEP_3)
	v_cmp_eq_u64_e64 s0, v[19:20], v[9:10]
	v_dual_mov_b32 v10, v8 :: v_dual_mov_b32 v9, v7
	s_delay_alu instid0(VALU_DEP_2)
	s_and_saveexec_b32 s5, s0
; %bb.48:
	v_bfe_u32 v9, v7, 20, 1
	s_delay_alu instid0(VALU_DEP_1) | instskip(NEXT) | instid1(VALU_DEP_1)
	v_add_co_u32 v9, s0, v7, v9
	v_add_co_u32 v9, s0, v9, -1
; %bb.49:
	s_or_b32 exec_lo, exec_lo, s5
	v_add_nc_u32_e32 v10, 0xffffff81, v15
	v_lshrrev_b32_e32 v15, 23, v7
	s_delay_alu instid0(VALU_DEP_3) | instskip(SKIP_1) | instid1(VALU_DEP_3)
	v_and_b32_e32 v9, 0xfffff, v9
	s_mov_b32 s0, exec_lo
	v_cndmask_b32_e64 v10, v10, 0xffffff82, vcc_lo
	s_delay_alu instid0(VALU_DEP_2) | instskip(SKIP_1) | instid1(VALU_DEP_3)
	v_add_co_u32 v7, vcc_lo, v9, v7
	v_add_co_ci_u32_e32 v8, vcc_lo, 0, v8, vcc_lo
	v_add3_u32 v10, v18, v10, v15
                                        ; implicit-def: $vgpr9
	s_delay_alu instid0(VALU_DEP_1) | instskip(NEXT) | instid1(VALU_DEP_1)
	v_add_nc_u32_e32 v15, 6, v10
	v_cmpx_ne_u32_e32 0, v15
	s_xor_b32 s0, exec_lo, s0
; %bb.50:
	v_cmp_lt_u64_e32 vcc_lo, 0xffffff, v[7:8]
	v_add_nc_u32_e32 v9, 7, v10
	v_cndmask_b32_e64 v10, 0, 1, vcc_lo
	s_delay_alu instid0(VALU_DEP_2) | instskip(NEXT) | instid1(VALU_DEP_2)
	v_cndmask_b32_e32 v9, v15, v9, vcc_lo
	v_lshrrev_b64 v[7:8], v10, v[7:8]
; %bb.51:
	s_and_not1_saveexec_b32 s0, s0
; %bb.52:
	s_delay_alu instid0(VALU_DEP_1)
	v_bfe_u32 v9, v7, 23, 1
; %bb.53:
	s_or_b32 exec_lo, exec_lo, s0
	s_delay_alu instid0(VALU_DEP_2) | instskip(NEXT) | instid1(VALU_DEP_2)
	v_lshrrev_b64 v[7:8], 20, v[7:8]
	v_cmp_gt_i32_e32 vcc_lo, 16, v9
	v_cmp_ne_u32_e64 s0, 0, v9
                                        ; implicit-def: $vgpr15
	s_delay_alu instid0(VALU_DEP_3) | instskip(NEXT) | instid1(VALU_DEP_1)
	v_dual_cndmask_b32 v8, 0, v8 :: v_dual_cndmask_b32 v7, 7, v7
	v_cmp_ne_u64_e32 vcc_lo, 0, v[7:8]
	s_delay_alu instid0(VALU_DEP_3) | instskip(NEXT) | instid1(SALU_CYCLE_1)
	s_or_b32 s0, s0, vcc_lo
	s_and_saveexec_b32 s5, s0
	s_delay_alu instid0(SALU_CYCLE_1)
	s_xor_b32 s0, exec_lo, s5
; %bb.54:
	v_min_i32_e32 v8, 15, v9
	s_delay_alu instid0(VALU_DEP_1) | instskip(NEXT) | instid1(VALU_DEP_1)
	v_lshl_or_b32 v8, v8, 3, v17
                                        ; implicit-def: $vgpr17
	v_and_or_b32 v15, v7, 7, v8
; %bb.55:
	s_and_not1_saveexec_b32 s0, s0
; %bb.56:
	v_mov_b32_e32 v15, v17
; %bb.57:
	s_or_b32 exec_lo, exec_lo, s0
.LBB3_58:
	s_delay_alu instid0(SALU_CYCLE_1)
	s_or_b32 exec_lo, exec_lo, s4
.LBB3_59:
	s_and_not1_saveexec_b32 s0, s3
	s_delay_alu instid0(SALU_CYCLE_1)
	s_or_b32 exec_lo, exec_lo, s0
                                        ; implicit-def: $vgpr10
                                        ; implicit-def: $vgpr7_vgpr8
.LBB3_60:
	s_and_not1_saveexec_b32 s0, s2
; %bb.61:
	v_cmp_eq_u64_e32 vcc_lo, 0, v[7:8]
	v_or_b32_e32 v9, 0x7f, v10
	s_delay_alu instid0(VALU_DEP_1)
	v_cndmask_b32_e32 v15, v9, v15, vcc_lo
; %bb.62:
	s_or_b32 exec_lo, exec_lo, s0
	v_dual_mul_f32 v7, v14, v32 :: v_dual_mov_b32 v8, 0
	s_mov_b32 s0, 0xc3e00000
	s_delay_alu instid0(VALU_DEP_1) | instid1(SALU_CYCLE_1)
	v_maxmin_f32 v9, v7, s0, 0x43e00000
	s_mov_b32 s0, exec_lo
	s_delay_alu instid0(VALU_DEP_2) | instskip(NEXT) | instid1(VALU_DEP_2)
	v_mov_b32_e32 v20, v8
	v_lshrrev_b32_e32 v10, 24, v9
	v_and_b32_e32 v19, 0x7f800000, v9
	v_and_b32_e32 v7, 0x7fffff, v9
	s_delay_alu instid0(VALU_DEP_3) | instskip(NEXT) | instid1(VALU_DEP_1)
	v_and_b32_e32 v18, 0x80, v10
	v_or_b32_e32 v17, 0x7e, v18
	s_delay_alu instid0(VALU_DEP_4)
	v_cmpx_ne_u64_e32 0x7f800000, v[19:20]
	s_xor_b32 s2, exec_lo, s0
	s_cbranch_execz .LBB3_78
; %bb.63:
	v_dual_mov_b32 v20, v8 :: v_dual_and_b32 v19, 0x7fffffff, v9
	s_mov_b32 s0, exec_lo
	s_delay_alu instid0(VALU_DEP_1)
	v_cmpx_gt_u64_e32 0x43e00001, v[19:20]
	s_xor_b32 s3, exec_lo, s0
	s_cbranch_execz .LBB3_77
; %bb.64:
	v_mov_b32_e32 v17, 0
	s_mov_b32 s4, exec_lo
	v_cmpx_ne_u32_e32 0, v9
	s_cbranch_execz .LBB3_76
; %bb.65:
	v_bfe_u32 v17, v9, 23, 8
	v_or_b32_e32 v20, 0x800000, v7
	s_delay_alu instid0(VALU_DEP_2) | instskip(SKIP_1) | instid1(VALU_DEP_2)
	v_sub_nc_u32_e32 v9, 0x79, v17
	v_cmp_gt_u32_e32 vcc_lo, 0x7a, v17
	v_cndmask_b32_e32 v9, 0, v9, vcc_lo
	v_cmp_eq_u32_e32 vcc_lo, 0, v17
	s_delay_alu instid0(VALU_DEP_2) | instskip(SKIP_1) | instid1(VALU_DEP_2)
	v_cndmask_b32_e64 v19, v9, 0x78, vcc_lo
	v_cndmask_b32_e32 v7, v20, v7, vcc_lo
	v_add_nc_u32_e32 v20, 19, v19
	v_add_nc_u32_e32 v9, 20, v19
	s_delay_alu instid0(VALU_DEP_1) | instskip(NEXT) | instid1(VALU_DEP_1)
	v_lshlrev_b64 v[9:10], v9, -1
	v_not_b32_e32 v32, v10
	s_delay_alu instid0(VALU_DEP_2) | instskip(SKIP_1) | instid1(VALU_DEP_3)
	v_not_b32_e32 v34, v9
	v_lshlrev_b64 v[9:10], v20, 1
	v_and_b32_e32 v33, 0, v32
	s_delay_alu instid0(VALU_DEP_3) | instskip(SKIP_1) | instid1(VALU_DEP_2)
	v_and_b32_e32 v32, v7, v34
	v_lshrrev_b64 v[7:8], v19, v[7:8]
	v_cmp_eq_u64_e64 s0, v[32:33], v[9:10]
	s_delay_alu instid0(VALU_DEP_2) | instskip(NEXT) | instid1(VALU_DEP_2)
	v_dual_mov_b32 v10, v8 :: v_dual_mov_b32 v9, v7
	s_and_saveexec_b32 s5, s0
; %bb.66:
	v_bfe_u32 v9, v7, 20, 1
	s_delay_alu instid0(VALU_DEP_1) | instskip(NEXT) | instid1(VALU_DEP_1)
	v_add_co_u32 v9, s0, v7, v9
	v_add_co_u32 v9, s0, v9, -1
; %bb.67:
	s_or_b32 exec_lo, exec_lo, s5
	v_add_nc_u32_e32 v10, 0xffffff81, v17
	v_lshrrev_b32_e32 v17, 23, v7
	s_delay_alu instid0(VALU_DEP_3) | instskip(SKIP_1) | instid1(VALU_DEP_3)
	v_and_b32_e32 v9, 0xfffff, v9
	s_mov_b32 s0, exec_lo
	v_cndmask_b32_e64 v10, v10, 0xffffff82, vcc_lo
	s_delay_alu instid0(VALU_DEP_2) | instskip(SKIP_1) | instid1(VALU_DEP_3)
	v_add_co_u32 v7, vcc_lo, v9, v7
	v_add_co_ci_u32_e32 v8, vcc_lo, 0, v8, vcc_lo
	v_add3_u32 v10, v19, v10, v17
                                        ; implicit-def: $vgpr9
	s_delay_alu instid0(VALU_DEP_1) | instskip(NEXT) | instid1(VALU_DEP_1)
	v_add_nc_u32_e32 v17, 6, v10
	v_cmpx_ne_u32_e32 0, v17
	s_xor_b32 s0, exec_lo, s0
; %bb.68:
	v_cmp_lt_u64_e32 vcc_lo, 0xffffff, v[7:8]
	v_add_nc_u32_e32 v9, 7, v10
	v_cndmask_b32_e64 v10, 0, 1, vcc_lo
	s_delay_alu instid0(VALU_DEP_2) | instskip(NEXT) | instid1(VALU_DEP_2)
	v_cndmask_b32_e32 v9, v17, v9, vcc_lo
	v_lshrrev_b64 v[7:8], v10, v[7:8]
; %bb.69:
	s_and_not1_saveexec_b32 s0, s0
; %bb.70:
	s_delay_alu instid0(VALU_DEP_1)
	v_bfe_u32 v9, v7, 23, 1
; %bb.71:
	s_or_b32 exec_lo, exec_lo, s0
	s_delay_alu instid0(VALU_DEP_2) | instskip(NEXT) | instid1(VALU_DEP_2)
	v_lshrrev_b64 v[7:8], 20, v[7:8]
	v_cmp_gt_i32_e32 vcc_lo, 16, v9
	v_cmp_ne_u32_e64 s0, 0, v9
                                        ; implicit-def: $vgpr17
	s_delay_alu instid0(VALU_DEP_3) | instskip(NEXT) | instid1(VALU_DEP_1)
	v_dual_cndmask_b32 v8, 0, v8 :: v_dual_cndmask_b32 v7, 7, v7
	v_cmp_ne_u64_e32 vcc_lo, 0, v[7:8]
	s_delay_alu instid0(VALU_DEP_3) | instskip(NEXT) | instid1(SALU_CYCLE_1)
	s_or_b32 s0, s0, vcc_lo
	s_and_saveexec_b32 s5, s0
	s_delay_alu instid0(SALU_CYCLE_1)
	s_xor_b32 s0, exec_lo, s5
; %bb.72:
	v_min_i32_e32 v8, 15, v9
	s_delay_alu instid0(VALU_DEP_1) | instskip(NEXT) | instid1(VALU_DEP_1)
	v_lshl_or_b32 v8, v8, 3, v18
                                        ; implicit-def: $vgpr18
	v_and_or_b32 v17, v7, 7, v8
; %bb.73:
	s_and_not1_saveexec_b32 s0, s0
; %bb.74:
	v_mov_b32_e32 v17, v18
; %bb.75:
	s_or_b32 exec_lo, exec_lo, s0
.LBB3_76:
	s_delay_alu instid0(SALU_CYCLE_1)
	s_or_b32 exec_lo, exec_lo, s4
.LBB3_77:
	s_and_not1_saveexec_b32 s0, s3
	s_delay_alu instid0(SALU_CYCLE_1)
	s_or_b32 exec_lo, exec_lo, s0
                                        ; implicit-def: $vgpr10
                                        ; implicit-def: $vgpr7_vgpr8
.LBB3_78:
	s_and_not1_saveexec_b32 s0, s2
; %bb.79:
	v_cmp_eq_u64_e32 vcc_lo, 0, v[7:8]
	v_or_b32_e32 v9, 0x7f, v10
	s_delay_alu instid0(VALU_DEP_1)
	v_cndmask_b32_e32 v17, v9, v17, vcc_lo
; %bb.80:
	s_or_b32 exec_lo, exec_lo, s0
	v_dual_mul_f32 v7, v14, v31 :: v_dual_mov_b32 v8, 0
	s_mov_b32 s0, 0xc3e00000
	s_delay_alu instid0(VALU_DEP_1) | instid1(SALU_CYCLE_1)
	v_maxmin_f32 v9, v7, s0, 0x43e00000
	s_mov_b32 s0, exec_lo
	s_delay_alu instid0(VALU_DEP_2) | instskip(NEXT) | instid1(VALU_DEP_2)
	v_mov_b32_e32 v32, v8
	v_lshrrev_b32_e32 v10, 24, v9
	v_and_b32_e32 v31, 0x7f800000, v9
	v_and_b32_e32 v7, 0x7fffff, v9
	s_delay_alu instid0(VALU_DEP_3) | instskip(NEXT) | instid1(VALU_DEP_1)
	v_and_b32_e32 v19, 0x80, v10
	v_or_b32_e32 v18, 0x7e, v19
	s_delay_alu instid0(VALU_DEP_4)
	v_cmpx_ne_u64_e32 0x7f800000, v[31:32]
	s_xor_b32 s2, exec_lo, s0
	s_cbranch_execz .LBB3_96
; %bb.81:
	v_dual_mov_b32 v32, v8 :: v_dual_and_b32 v31, 0x7fffffff, v9
	s_mov_b32 s0, exec_lo
	s_delay_alu instid0(VALU_DEP_1)
	v_cmpx_gt_u64_e32 0x43e00001, v[31:32]
	s_xor_b32 s3, exec_lo, s0
	s_cbranch_execz .LBB3_95
; %bb.82:
	v_mov_b32_e32 v18, 0
	s_mov_b32 s4, exec_lo
	v_cmpx_ne_u32_e32 0, v9
	s_cbranch_execz .LBB3_94
; %bb.83:
	v_bfe_u32 v18, v9, 23, 8
	v_or_b32_e32 v31, 0x800000, v7
	s_delay_alu instid0(VALU_DEP_2) | instskip(SKIP_1) | instid1(VALU_DEP_2)
	v_sub_nc_u32_e32 v9, 0x79, v18
	v_cmp_gt_u32_e32 vcc_lo, 0x7a, v18
	v_cndmask_b32_e32 v9, 0, v9, vcc_lo
	v_cmp_eq_u32_e32 vcc_lo, 0, v18
	s_delay_alu instid0(VALU_DEP_2) | instskip(SKIP_1) | instid1(VALU_DEP_2)
	v_cndmask_b32_e64 v20, v9, 0x78, vcc_lo
	v_cndmask_b32_e32 v7, v31, v7, vcc_lo
	v_add_nc_u32_e32 v9, 20, v20
	v_add_nc_u32_e32 v31, 19, v20
	s_delay_alu instid0(VALU_DEP_2) | instskip(NEXT) | instid1(VALU_DEP_1)
	v_lshlrev_b64 v[9:10], v9, -1
	v_not_b32_e32 v33, v9
	s_delay_alu instid0(VALU_DEP_2) | instskip(NEXT) | instid1(VALU_DEP_4)
	v_not_b32_e32 v32, v10
	v_lshlrev_b64 v[9:10], v31, 1
	s_delay_alu instid0(VALU_DEP_3) | instskip(SKIP_1) | instid1(VALU_DEP_4)
	v_and_b32_e32 v31, v7, v33
	v_lshrrev_b64 v[7:8], v20, v[7:8]
	v_and_b32_e32 v32, 0, v32
	s_delay_alu instid0(VALU_DEP_1) | instskip(NEXT) | instid1(VALU_DEP_3)
	v_cmp_eq_u64_e64 s0, v[31:32], v[9:10]
	v_dual_mov_b32 v10, v8 :: v_dual_mov_b32 v9, v7
	s_delay_alu instid0(VALU_DEP_2)
	s_and_saveexec_b32 s5, s0
; %bb.84:
	v_bfe_u32 v9, v7, 20, 1
	s_delay_alu instid0(VALU_DEP_1) | instskip(NEXT) | instid1(VALU_DEP_1)
	v_add_co_u32 v9, s0, v7, v9
	v_add_co_u32 v9, s0, v9, -1
; %bb.85:
	s_or_b32 exec_lo, exec_lo, s5
	v_add_nc_u32_e32 v10, 0xffffff81, v18
	v_lshrrev_b32_e32 v18, 23, v7
	s_delay_alu instid0(VALU_DEP_3) | instskip(SKIP_1) | instid1(VALU_DEP_3)
	v_and_b32_e32 v9, 0xfffff, v9
	s_mov_b32 s0, exec_lo
	v_cndmask_b32_e64 v10, v10, 0xffffff82, vcc_lo
	s_delay_alu instid0(VALU_DEP_2) | instskip(SKIP_1) | instid1(VALU_DEP_3)
	v_add_co_u32 v7, vcc_lo, v9, v7
	v_add_co_ci_u32_e32 v8, vcc_lo, 0, v8, vcc_lo
	v_add3_u32 v10, v20, v10, v18
                                        ; implicit-def: $vgpr9
	s_delay_alu instid0(VALU_DEP_1) | instskip(NEXT) | instid1(VALU_DEP_1)
	v_add_nc_u32_e32 v18, 6, v10
	v_cmpx_ne_u32_e32 0, v18
	s_xor_b32 s0, exec_lo, s0
; %bb.86:
	v_cmp_lt_u64_e32 vcc_lo, 0xffffff, v[7:8]
	v_add_nc_u32_e32 v9, 7, v10
	v_cndmask_b32_e64 v10, 0, 1, vcc_lo
	s_delay_alu instid0(VALU_DEP_2) | instskip(NEXT) | instid1(VALU_DEP_2)
	v_cndmask_b32_e32 v9, v18, v9, vcc_lo
	v_lshrrev_b64 v[7:8], v10, v[7:8]
; %bb.87:
	s_and_not1_saveexec_b32 s0, s0
; %bb.88:
	s_delay_alu instid0(VALU_DEP_1)
	v_bfe_u32 v9, v7, 23, 1
; %bb.89:
	s_or_b32 exec_lo, exec_lo, s0
	s_delay_alu instid0(VALU_DEP_2) | instskip(NEXT) | instid1(VALU_DEP_2)
	v_lshrrev_b64 v[7:8], 20, v[7:8]
	v_cmp_gt_i32_e32 vcc_lo, 16, v9
	v_cmp_ne_u32_e64 s0, 0, v9
                                        ; implicit-def: $vgpr18
	s_delay_alu instid0(VALU_DEP_3) | instskip(NEXT) | instid1(VALU_DEP_1)
	v_dual_cndmask_b32 v8, 0, v8 :: v_dual_cndmask_b32 v7, 7, v7
	v_cmp_ne_u64_e32 vcc_lo, 0, v[7:8]
	s_delay_alu instid0(VALU_DEP_3) | instskip(NEXT) | instid1(SALU_CYCLE_1)
	s_or_b32 s0, s0, vcc_lo
	s_and_saveexec_b32 s5, s0
	s_delay_alu instid0(SALU_CYCLE_1)
	s_xor_b32 s0, exec_lo, s5
; %bb.90:
	v_min_i32_e32 v8, 15, v9
	s_delay_alu instid0(VALU_DEP_1) | instskip(NEXT) | instid1(VALU_DEP_1)
	v_lshl_or_b32 v8, v8, 3, v19
                                        ; implicit-def: $vgpr19
	v_and_or_b32 v18, v7, 7, v8
; %bb.91:
	s_and_not1_saveexec_b32 s0, s0
; %bb.92:
	v_mov_b32_e32 v18, v19
; %bb.93:
	s_or_b32 exec_lo, exec_lo, s0
.LBB3_94:
	s_delay_alu instid0(SALU_CYCLE_1)
	s_or_b32 exec_lo, exec_lo, s4
.LBB3_95:
	s_and_not1_saveexec_b32 s0, s3
	s_delay_alu instid0(SALU_CYCLE_1)
	s_or_b32 exec_lo, exec_lo, s0
                                        ; implicit-def: $vgpr10
                                        ; implicit-def: $vgpr7_vgpr8
.LBB3_96:
	s_and_not1_saveexec_b32 s0, s2
; %bb.97:
	v_cmp_eq_u64_e32 vcc_lo, 0, v[7:8]
	v_or_b32_e32 v9, 0x7f, v10
	s_delay_alu instid0(VALU_DEP_1)
	v_cndmask_b32_e32 v18, v9, v18, vcc_lo
; %bb.98:
	s_or_b32 exec_lo, exec_lo, s0
	v_dual_mul_f32 v7, v14, v30 :: v_dual_mov_b32 v8, 0
	s_mov_b32 s0, 0xc3e00000
	s_delay_alu instid0(VALU_DEP_1) | instid1(SALU_CYCLE_1)
	v_maxmin_f32 v9, v7, s0, 0x43e00000
	s_mov_b32 s0, exec_lo
	s_delay_alu instid0(VALU_DEP_2) | instskip(NEXT) | instid1(VALU_DEP_2)
	v_mov_b32_e32 v31, v8
	v_lshrrev_b32_e32 v10, 24, v9
	v_and_b32_e32 v30, 0x7f800000, v9
	v_and_b32_e32 v7, 0x7fffff, v9
	s_delay_alu instid0(VALU_DEP_3) | instskip(NEXT) | instid1(VALU_DEP_1)
	v_and_b32_e32 v20, 0x80, v10
	v_or_b32_e32 v19, 0x7e, v20
	s_delay_alu instid0(VALU_DEP_4)
	v_cmpx_ne_u64_e32 0x7f800000, v[30:31]
	s_xor_b32 s2, exec_lo, s0
	s_cbranch_execz .LBB3_114
; %bb.99:
	v_dual_mov_b32 v31, v8 :: v_dual_and_b32 v30, 0x7fffffff, v9
	s_mov_b32 s0, exec_lo
	s_delay_alu instid0(VALU_DEP_1)
	v_cmpx_gt_u64_e32 0x43e00001, v[30:31]
	s_xor_b32 s3, exec_lo, s0
	s_cbranch_execz .LBB3_113
; %bb.100:
	v_mov_b32_e32 v19, 0
	s_mov_b32 s4, exec_lo
	v_cmpx_ne_u32_e32 0, v9
	s_cbranch_execz .LBB3_112
; %bb.101:
	v_bfe_u32 v19, v9, 23, 8
	v_or_b32_e32 v31, 0x800000, v7
	s_delay_alu instid0(VALU_DEP_2) | instskip(SKIP_1) | instid1(VALU_DEP_2)
	v_sub_nc_u32_e32 v9, 0x79, v19
	v_cmp_gt_u32_e32 vcc_lo, 0x7a, v19
	v_cndmask_b32_e32 v9, 0, v9, vcc_lo
	v_cmp_eq_u32_e32 vcc_lo, 0, v19
	s_delay_alu instid0(VALU_DEP_2) | instskip(SKIP_1) | instid1(VALU_DEP_2)
	v_cndmask_b32_e64 v30, v9, 0x78, vcc_lo
	v_cndmask_b32_e32 v7, v31, v7, vcc_lo
	v_add_nc_u32_e32 v9, 20, v30
	v_add_nc_u32_e32 v31, 19, v30
	s_delay_alu instid0(VALU_DEP_2) | instskip(NEXT) | instid1(VALU_DEP_1)
	v_lshlrev_b64 v[9:10], v9, -1
	v_not_b32_e32 v33, v9
	s_delay_alu instid0(VALU_DEP_2) | instskip(NEXT) | instid1(VALU_DEP_4)
	v_not_b32_e32 v32, v10
	v_lshlrev_b64 v[9:10], v31, 1
	s_delay_alu instid0(VALU_DEP_3) | instskip(SKIP_1) | instid1(VALU_DEP_4)
	v_and_b32_e32 v31, v7, v33
	v_lshrrev_b64 v[7:8], v30, v[7:8]
	v_and_b32_e32 v32, 0, v32
	s_delay_alu instid0(VALU_DEP_1) | instskip(NEXT) | instid1(VALU_DEP_3)
	v_cmp_eq_u64_e64 s0, v[31:32], v[9:10]
	v_dual_mov_b32 v10, v8 :: v_dual_mov_b32 v9, v7
	s_delay_alu instid0(VALU_DEP_2)
	s_and_saveexec_b32 s5, s0
; %bb.102:
	v_bfe_u32 v9, v7, 20, 1
	s_delay_alu instid0(VALU_DEP_1) | instskip(NEXT) | instid1(VALU_DEP_1)
	v_add_co_u32 v9, s0, v7, v9
	v_add_co_u32 v9, s0, v9, -1
; %bb.103:
	s_or_b32 exec_lo, exec_lo, s5
	v_add_nc_u32_e32 v10, 0xffffff81, v19
	v_lshrrev_b32_e32 v19, 23, v7
	s_delay_alu instid0(VALU_DEP_3) | instskip(SKIP_1) | instid1(VALU_DEP_3)
	v_and_b32_e32 v9, 0xfffff, v9
	s_mov_b32 s0, exec_lo
	v_cndmask_b32_e64 v10, v10, 0xffffff82, vcc_lo
	s_delay_alu instid0(VALU_DEP_2) | instskip(SKIP_1) | instid1(VALU_DEP_3)
	v_add_co_u32 v7, vcc_lo, v9, v7
	v_add_co_ci_u32_e32 v8, vcc_lo, 0, v8, vcc_lo
	v_add3_u32 v10, v30, v10, v19
                                        ; implicit-def: $vgpr9
	s_delay_alu instid0(VALU_DEP_1) | instskip(NEXT) | instid1(VALU_DEP_1)
	v_add_nc_u32_e32 v19, 6, v10
	v_cmpx_ne_u32_e32 0, v19
	s_xor_b32 s0, exec_lo, s0
; %bb.104:
	v_cmp_lt_u64_e32 vcc_lo, 0xffffff, v[7:8]
	v_add_nc_u32_e32 v9, 7, v10
	v_cndmask_b32_e64 v10, 0, 1, vcc_lo
	s_delay_alu instid0(VALU_DEP_2) | instskip(NEXT) | instid1(VALU_DEP_2)
	v_cndmask_b32_e32 v9, v19, v9, vcc_lo
	v_lshrrev_b64 v[7:8], v10, v[7:8]
; %bb.105:
	s_and_not1_saveexec_b32 s0, s0
; %bb.106:
	s_delay_alu instid0(VALU_DEP_1)
	v_bfe_u32 v9, v7, 23, 1
; %bb.107:
	s_or_b32 exec_lo, exec_lo, s0
	s_delay_alu instid0(VALU_DEP_2) | instskip(NEXT) | instid1(VALU_DEP_2)
	v_lshrrev_b64 v[7:8], 20, v[7:8]
	v_cmp_gt_i32_e32 vcc_lo, 16, v9
	v_cmp_ne_u32_e64 s0, 0, v9
                                        ; implicit-def: $vgpr19
	s_delay_alu instid0(VALU_DEP_3) | instskip(NEXT) | instid1(VALU_DEP_1)
	v_dual_cndmask_b32 v8, 0, v8 :: v_dual_cndmask_b32 v7, 7, v7
	v_cmp_ne_u64_e32 vcc_lo, 0, v[7:8]
	s_delay_alu instid0(VALU_DEP_3) | instskip(NEXT) | instid1(SALU_CYCLE_1)
	s_or_b32 s0, s0, vcc_lo
	s_and_saveexec_b32 s5, s0
	s_delay_alu instid0(SALU_CYCLE_1)
	s_xor_b32 s0, exec_lo, s5
; %bb.108:
	v_min_i32_e32 v8, 15, v9
	s_delay_alu instid0(VALU_DEP_1) | instskip(NEXT) | instid1(VALU_DEP_1)
	v_lshl_or_b32 v8, v8, 3, v20
                                        ; implicit-def: $vgpr20
	v_and_or_b32 v19, v7, 7, v8
; %bb.109:
	s_and_not1_saveexec_b32 s0, s0
; %bb.110:
	v_mov_b32_e32 v19, v20
; %bb.111:
	s_or_b32 exec_lo, exec_lo, s0
.LBB3_112:
	s_delay_alu instid0(SALU_CYCLE_1)
	s_or_b32 exec_lo, exec_lo, s4
.LBB3_113:
	s_and_not1_saveexec_b32 s0, s3
	s_delay_alu instid0(SALU_CYCLE_1)
	s_or_b32 exec_lo, exec_lo, s0
                                        ; implicit-def: $vgpr10
                                        ; implicit-def: $vgpr7_vgpr8
.LBB3_114:
	s_and_not1_saveexec_b32 s0, s2
; %bb.115:
	v_cmp_eq_u64_e32 vcc_lo, 0, v[7:8]
	v_or_b32_e32 v9, 0x7f, v10
	s_delay_alu instid0(VALU_DEP_1)
	v_cndmask_b32_e32 v19, v9, v19, vcc_lo
; %bb.116:
	s_or_b32 exec_lo, exec_lo, s0
	v_dual_mul_f32 v7, v14, v29 :: v_dual_mov_b32 v8, 0
	s_mov_b32 s0, 0xc3e00000
	s_delay_alu instid0(VALU_DEP_1) | instid1(SALU_CYCLE_1)
	v_maxmin_f32 v9, v7, s0, 0x43e00000
	s_mov_b32 s0, exec_lo
	s_delay_alu instid0(VALU_DEP_2) | instskip(NEXT) | instid1(VALU_DEP_2)
	v_mov_b32_e32 v31, v8
	v_lshrrev_b32_e32 v10, 24, v9
	v_and_b32_e32 v30, 0x7f800000, v9
	v_and_b32_e32 v7, 0x7fffff, v9
	s_delay_alu instid0(VALU_DEP_3) | instskip(NEXT) | instid1(VALU_DEP_1)
	v_and_b32_e32 v29, 0x80, v10
	v_or_b32_e32 v20, 0x7e, v29
	s_delay_alu instid0(VALU_DEP_4)
	v_cmpx_ne_u64_e32 0x7f800000, v[30:31]
	s_xor_b32 s2, exec_lo, s0
	s_cbranch_execz .LBB3_132
; %bb.117:
	v_dual_mov_b32 v31, v8 :: v_dual_and_b32 v30, 0x7fffffff, v9
	s_mov_b32 s0, exec_lo
	s_delay_alu instid0(VALU_DEP_1)
	v_cmpx_gt_u64_e32 0x43e00001, v[30:31]
	s_xor_b32 s3, exec_lo, s0
	s_cbranch_execz .LBB3_131
; %bb.118:
	v_mov_b32_e32 v20, 0
	s_mov_b32 s4, exec_lo
	v_cmpx_ne_u32_e32 0, v9
	s_cbranch_execz .LBB3_130
; %bb.119:
	v_bfe_u32 v20, v9, 23, 8
	v_or_b32_e32 v31, 0x800000, v7
	s_delay_alu instid0(VALU_DEP_2) | instskip(SKIP_1) | instid1(VALU_DEP_2)
	v_sub_nc_u32_e32 v9, 0x79, v20
	v_cmp_gt_u32_e32 vcc_lo, 0x7a, v20
	v_cndmask_b32_e32 v9, 0, v9, vcc_lo
	v_cmp_eq_u32_e32 vcc_lo, 0, v20
	s_delay_alu instid0(VALU_DEP_2) | instskip(SKIP_1) | instid1(VALU_DEP_2)
	v_cndmask_b32_e64 v30, v9, 0x78, vcc_lo
	v_cndmask_b32_e32 v7, v31, v7, vcc_lo
	v_add_nc_u32_e32 v9, 20, v30
	v_add_nc_u32_e32 v31, 19, v30
	s_delay_alu instid0(VALU_DEP_2) | instskip(NEXT) | instid1(VALU_DEP_1)
	v_lshlrev_b64 v[9:10], v9, -1
	v_not_b32_e32 v33, v9
	s_delay_alu instid0(VALU_DEP_2) | instskip(NEXT) | instid1(VALU_DEP_4)
	v_not_b32_e32 v32, v10
	v_lshlrev_b64 v[9:10], v31, 1
	s_delay_alu instid0(VALU_DEP_3) | instskip(SKIP_1) | instid1(VALU_DEP_4)
	v_and_b32_e32 v31, v7, v33
	v_lshrrev_b64 v[7:8], v30, v[7:8]
	v_and_b32_e32 v32, 0, v32
	s_delay_alu instid0(VALU_DEP_1) | instskip(NEXT) | instid1(VALU_DEP_3)
	v_cmp_eq_u64_e64 s0, v[31:32], v[9:10]
	v_dual_mov_b32 v10, v8 :: v_dual_mov_b32 v9, v7
	s_delay_alu instid0(VALU_DEP_2)
	s_and_saveexec_b32 s5, s0
; %bb.120:
	v_bfe_u32 v9, v7, 20, 1
	s_delay_alu instid0(VALU_DEP_1) | instskip(NEXT) | instid1(VALU_DEP_1)
	v_add_co_u32 v9, s0, v7, v9
	v_add_co_u32 v9, s0, v9, -1
; %bb.121:
	s_or_b32 exec_lo, exec_lo, s5
	v_add_nc_u32_e32 v10, 0xffffff81, v20
	v_lshrrev_b32_e32 v20, 23, v7
	s_delay_alu instid0(VALU_DEP_3) | instskip(SKIP_1) | instid1(VALU_DEP_3)
	v_and_b32_e32 v9, 0xfffff, v9
	s_mov_b32 s0, exec_lo
	v_cndmask_b32_e64 v10, v10, 0xffffff82, vcc_lo
	s_delay_alu instid0(VALU_DEP_2) | instskip(SKIP_1) | instid1(VALU_DEP_3)
	v_add_co_u32 v7, vcc_lo, v9, v7
	v_add_co_ci_u32_e32 v8, vcc_lo, 0, v8, vcc_lo
	v_add3_u32 v10, v30, v10, v20
                                        ; implicit-def: $vgpr9
	s_delay_alu instid0(VALU_DEP_1) | instskip(NEXT) | instid1(VALU_DEP_1)
	v_add_nc_u32_e32 v20, 6, v10
	v_cmpx_ne_u32_e32 0, v20
	s_xor_b32 s0, exec_lo, s0
; %bb.122:
	v_cmp_lt_u64_e32 vcc_lo, 0xffffff, v[7:8]
	v_add_nc_u32_e32 v9, 7, v10
	v_cndmask_b32_e64 v10, 0, 1, vcc_lo
	s_delay_alu instid0(VALU_DEP_2) | instskip(NEXT) | instid1(VALU_DEP_2)
	v_cndmask_b32_e32 v9, v20, v9, vcc_lo
	v_lshrrev_b64 v[7:8], v10, v[7:8]
; %bb.123:
	s_and_not1_saveexec_b32 s0, s0
; %bb.124:
	s_delay_alu instid0(VALU_DEP_1)
	v_bfe_u32 v9, v7, 23, 1
; %bb.125:
	s_or_b32 exec_lo, exec_lo, s0
	s_delay_alu instid0(VALU_DEP_2) | instskip(NEXT) | instid1(VALU_DEP_2)
	v_lshrrev_b64 v[7:8], 20, v[7:8]
	v_cmp_gt_i32_e32 vcc_lo, 16, v9
	v_cmp_ne_u32_e64 s0, 0, v9
                                        ; implicit-def: $vgpr20
	s_delay_alu instid0(VALU_DEP_3) | instskip(NEXT) | instid1(VALU_DEP_1)
	v_dual_cndmask_b32 v8, 0, v8 :: v_dual_cndmask_b32 v7, 7, v7
	v_cmp_ne_u64_e32 vcc_lo, 0, v[7:8]
	s_delay_alu instid0(VALU_DEP_3) | instskip(NEXT) | instid1(SALU_CYCLE_1)
	s_or_b32 s0, s0, vcc_lo
	s_and_saveexec_b32 s5, s0
	s_delay_alu instid0(SALU_CYCLE_1)
	s_xor_b32 s0, exec_lo, s5
; %bb.126:
	v_min_i32_e32 v8, 15, v9
	s_delay_alu instid0(VALU_DEP_1) | instskip(NEXT) | instid1(VALU_DEP_1)
	v_lshl_or_b32 v8, v8, 3, v29
                                        ; implicit-def: $vgpr29
	v_and_or_b32 v20, v7, 7, v8
; %bb.127:
	s_and_not1_saveexec_b32 s0, s0
; %bb.128:
	v_mov_b32_e32 v20, v29
; %bb.129:
	s_or_b32 exec_lo, exec_lo, s0
.LBB3_130:
	s_delay_alu instid0(SALU_CYCLE_1)
	s_or_b32 exec_lo, exec_lo, s4
.LBB3_131:
	s_and_not1_saveexec_b32 s0, s3
	s_delay_alu instid0(SALU_CYCLE_1)
	s_or_b32 exec_lo, exec_lo, s0
                                        ; implicit-def: $vgpr10
                                        ; implicit-def: $vgpr7_vgpr8
.LBB3_132:
	s_and_not1_saveexec_b32 s0, s2
; %bb.133:
	v_cmp_eq_u64_e32 vcc_lo, 0, v[7:8]
	v_or_b32_e32 v9, 0x7f, v10
	s_delay_alu instid0(VALU_DEP_1)
	v_cndmask_b32_e32 v20, v9, v20, vcc_lo
; %bb.134:
	s_or_b32 exec_lo, exec_lo, s0
	v_dual_mul_f32 v7, v14, v25 :: v_dual_mov_b32 v8, 0
	s_mov_b32 s0, 0xc3e00000
	s_delay_alu instid0(VALU_DEP_1) | instid1(SALU_CYCLE_1)
	v_maxmin_f32 v9, v7, s0, 0x43e00000
	s_mov_b32 s0, exec_lo
	s_delay_alu instid0(VALU_DEP_2) | instskip(NEXT) | instid1(VALU_DEP_2)
	v_mov_b32_e32 v31, v8
	v_lshrrev_b32_e32 v10, 24, v9
	v_and_b32_e32 v30, 0x7f800000, v9
	v_and_b32_e32 v7, 0x7fffff, v9
	s_delay_alu instid0(VALU_DEP_3) | instskip(NEXT) | instid1(VALU_DEP_1)
	v_and_b32_e32 v29, 0x80, v10
	v_or_b32_e32 v25, 0x7e, v29
	s_delay_alu instid0(VALU_DEP_4)
	v_cmpx_ne_u64_e32 0x7f800000, v[30:31]
	s_xor_b32 s2, exec_lo, s0
	s_cbranch_execz .LBB3_150
; %bb.135:
	v_dual_mov_b32 v31, v8 :: v_dual_and_b32 v30, 0x7fffffff, v9
	s_mov_b32 s0, exec_lo
	s_delay_alu instid0(VALU_DEP_1)
	v_cmpx_gt_u64_e32 0x43e00001, v[30:31]
	s_xor_b32 s3, exec_lo, s0
	s_cbranch_execz .LBB3_149
; %bb.136:
	v_mov_b32_e32 v25, 0
	s_mov_b32 s4, exec_lo
	v_cmpx_ne_u32_e32 0, v9
	s_cbranch_execz .LBB3_148
; %bb.137:
	v_bfe_u32 v25, v9, 23, 8
	v_or_b32_e32 v31, 0x800000, v7
	s_delay_alu instid0(VALU_DEP_2) | instskip(SKIP_1) | instid1(VALU_DEP_2)
	v_sub_nc_u32_e32 v9, 0x79, v25
	v_cmp_gt_u32_e32 vcc_lo, 0x7a, v25
	v_cndmask_b32_e32 v9, 0, v9, vcc_lo
	v_cmp_eq_u32_e32 vcc_lo, 0, v25
	s_delay_alu instid0(VALU_DEP_2) | instskip(SKIP_1) | instid1(VALU_DEP_2)
	v_cndmask_b32_e64 v30, v9, 0x78, vcc_lo
	v_cndmask_b32_e32 v7, v31, v7, vcc_lo
	v_add_nc_u32_e32 v9, 20, v30
	v_add_nc_u32_e32 v31, 19, v30
	s_delay_alu instid0(VALU_DEP_2) | instskip(NEXT) | instid1(VALU_DEP_1)
	v_lshlrev_b64 v[9:10], v9, -1
	v_not_b32_e32 v33, v9
	s_delay_alu instid0(VALU_DEP_2) | instskip(NEXT) | instid1(VALU_DEP_4)
	v_not_b32_e32 v32, v10
	v_lshlrev_b64 v[9:10], v31, 1
	s_delay_alu instid0(VALU_DEP_3) | instskip(SKIP_1) | instid1(VALU_DEP_4)
	v_and_b32_e32 v31, v7, v33
	v_lshrrev_b64 v[7:8], v30, v[7:8]
	v_and_b32_e32 v32, 0, v32
	s_delay_alu instid0(VALU_DEP_1) | instskip(NEXT) | instid1(VALU_DEP_3)
	v_cmp_eq_u64_e64 s0, v[31:32], v[9:10]
	v_dual_mov_b32 v10, v8 :: v_dual_mov_b32 v9, v7
	s_delay_alu instid0(VALU_DEP_2)
	s_and_saveexec_b32 s5, s0
; %bb.138:
	v_bfe_u32 v9, v7, 20, 1
	s_delay_alu instid0(VALU_DEP_1) | instskip(NEXT) | instid1(VALU_DEP_1)
	v_add_co_u32 v9, s0, v7, v9
	v_add_co_u32 v9, s0, v9, -1
; %bb.139:
	s_or_b32 exec_lo, exec_lo, s5
	v_add_nc_u32_e32 v10, 0xffffff81, v25
	v_lshrrev_b32_e32 v25, 23, v7
	s_delay_alu instid0(VALU_DEP_3) | instskip(SKIP_1) | instid1(VALU_DEP_3)
	v_and_b32_e32 v9, 0xfffff, v9
	s_mov_b32 s0, exec_lo
	v_cndmask_b32_e64 v10, v10, 0xffffff82, vcc_lo
	s_delay_alu instid0(VALU_DEP_2) | instskip(SKIP_1) | instid1(VALU_DEP_3)
	v_add_co_u32 v7, vcc_lo, v9, v7
	v_add_co_ci_u32_e32 v8, vcc_lo, 0, v8, vcc_lo
	v_add3_u32 v10, v30, v10, v25
                                        ; implicit-def: $vgpr9
	s_delay_alu instid0(VALU_DEP_1) | instskip(NEXT) | instid1(VALU_DEP_1)
	v_add_nc_u32_e32 v25, 6, v10
	v_cmpx_ne_u32_e32 0, v25
	s_xor_b32 s0, exec_lo, s0
; %bb.140:
	v_cmp_lt_u64_e32 vcc_lo, 0xffffff, v[7:8]
	v_add_nc_u32_e32 v9, 7, v10
	v_cndmask_b32_e64 v10, 0, 1, vcc_lo
	s_delay_alu instid0(VALU_DEP_2) | instskip(NEXT) | instid1(VALU_DEP_2)
	v_cndmask_b32_e32 v9, v25, v9, vcc_lo
	v_lshrrev_b64 v[7:8], v10, v[7:8]
; %bb.141:
	s_and_not1_saveexec_b32 s0, s0
; %bb.142:
	s_delay_alu instid0(VALU_DEP_1)
	v_bfe_u32 v9, v7, 23, 1
; %bb.143:
	s_or_b32 exec_lo, exec_lo, s0
	s_delay_alu instid0(VALU_DEP_2) | instskip(NEXT) | instid1(VALU_DEP_2)
	v_lshrrev_b64 v[7:8], 20, v[7:8]
	v_cmp_gt_i32_e32 vcc_lo, 16, v9
	v_cmp_ne_u32_e64 s0, 0, v9
                                        ; implicit-def: $vgpr25
	s_delay_alu instid0(VALU_DEP_3) | instskip(NEXT) | instid1(VALU_DEP_1)
	v_dual_cndmask_b32 v8, 0, v8 :: v_dual_cndmask_b32 v7, 7, v7
	v_cmp_ne_u64_e32 vcc_lo, 0, v[7:8]
	s_delay_alu instid0(VALU_DEP_3) | instskip(NEXT) | instid1(SALU_CYCLE_1)
	s_or_b32 s0, s0, vcc_lo
	s_and_saveexec_b32 s5, s0
	s_delay_alu instid0(SALU_CYCLE_1)
	s_xor_b32 s0, exec_lo, s5
; %bb.144:
	v_min_i32_e32 v8, 15, v9
	s_delay_alu instid0(VALU_DEP_1) | instskip(NEXT) | instid1(VALU_DEP_1)
	v_lshl_or_b32 v8, v8, 3, v29
                                        ; implicit-def: $vgpr29
	v_and_or_b32 v25, v7, 7, v8
; %bb.145:
	s_and_not1_saveexec_b32 s0, s0
; %bb.146:
	v_mov_b32_e32 v25, v29
; %bb.147:
	s_or_b32 exec_lo, exec_lo, s0
.LBB3_148:
	s_delay_alu instid0(SALU_CYCLE_1)
	s_or_b32 exec_lo, exec_lo, s4
.LBB3_149:
	s_and_not1_saveexec_b32 s0, s3
	s_delay_alu instid0(SALU_CYCLE_1)
	s_or_b32 exec_lo, exec_lo, s0
                                        ; implicit-def: $vgpr10
                                        ; implicit-def: $vgpr7_vgpr8
.LBB3_150:
	s_and_not1_saveexec_b32 s0, s2
; %bb.151:
	v_cmp_eq_u64_e32 vcc_lo, 0, v[7:8]
	v_or_b32_e32 v9, 0x7f, v10
	s_delay_alu instid0(VALU_DEP_1)
	v_cndmask_b32_e32 v25, v9, v25, vcc_lo
; %bb.152:
	s_or_b32 exec_lo, exec_lo, s0
	v_dual_mul_f32 v7, v14, v27 :: v_dual_mov_b32 v8, 0
	s_mov_b32 s0, 0xc3e00000
	s_delay_alu instid0(VALU_DEP_1) | instid1(SALU_CYCLE_1)
	v_maxmin_f32 v9, v7, s0, 0x43e00000
	s_mov_b32 s0, exec_lo
	s_delay_alu instid0(VALU_DEP_2) | instskip(NEXT) | instid1(VALU_DEP_2)
	v_mov_b32_e32 v31, v8
	v_lshrrev_b32_e32 v10, 24, v9
	v_and_b32_e32 v30, 0x7f800000, v9
	v_and_b32_e32 v7, 0x7fffff, v9
	s_delay_alu instid0(VALU_DEP_3) | instskip(NEXT) | instid1(VALU_DEP_1)
	v_and_b32_e32 v29, 0x80, v10
	v_or_b32_e32 v27, 0x7e, v29
	s_delay_alu instid0(VALU_DEP_4)
	v_cmpx_ne_u64_e32 0x7f800000, v[30:31]
	s_xor_b32 s2, exec_lo, s0
	s_cbranch_execz .LBB3_168
; %bb.153:
	v_dual_mov_b32 v31, v8 :: v_dual_and_b32 v30, 0x7fffffff, v9
	s_mov_b32 s0, exec_lo
	s_delay_alu instid0(VALU_DEP_1)
	v_cmpx_gt_u64_e32 0x43e00001, v[30:31]
	s_xor_b32 s3, exec_lo, s0
	s_cbranch_execz .LBB3_167
; %bb.154:
	v_mov_b32_e32 v27, 0
	s_mov_b32 s4, exec_lo
	v_cmpx_ne_u32_e32 0, v9
	s_cbranch_execz .LBB3_166
; %bb.155:
	v_bfe_u32 v27, v9, 23, 8
	v_or_b32_e32 v31, 0x800000, v7
	s_delay_alu instid0(VALU_DEP_2) | instskip(SKIP_1) | instid1(VALU_DEP_2)
	v_sub_nc_u32_e32 v9, 0x79, v27
	v_cmp_gt_u32_e32 vcc_lo, 0x7a, v27
	v_cndmask_b32_e32 v9, 0, v9, vcc_lo
	v_cmp_eq_u32_e32 vcc_lo, 0, v27
	s_delay_alu instid0(VALU_DEP_2) | instskip(SKIP_1) | instid1(VALU_DEP_2)
	v_cndmask_b32_e64 v30, v9, 0x78, vcc_lo
	v_cndmask_b32_e32 v7, v31, v7, vcc_lo
	v_add_nc_u32_e32 v9, 20, v30
	v_add_nc_u32_e32 v31, 19, v30
	s_delay_alu instid0(VALU_DEP_2) | instskip(NEXT) | instid1(VALU_DEP_1)
	v_lshlrev_b64 v[9:10], v9, -1
	v_not_b32_e32 v33, v9
	s_delay_alu instid0(VALU_DEP_2) | instskip(NEXT) | instid1(VALU_DEP_4)
	v_not_b32_e32 v32, v10
	v_lshlrev_b64 v[9:10], v31, 1
	s_delay_alu instid0(VALU_DEP_3) | instskip(SKIP_1) | instid1(VALU_DEP_4)
	v_and_b32_e32 v31, v7, v33
	v_lshrrev_b64 v[7:8], v30, v[7:8]
	v_and_b32_e32 v32, 0, v32
	s_delay_alu instid0(VALU_DEP_1) | instskip(NEXT) | instid1(VALU_DEP_3)
	v_cmp_eq_u64_e64 s0, v[31:32], v[9:10]
	v_dual_mov_b32 v10, v8 :: v_dual_mov_b32 v9, v7
	s_delay_alu instid0(VALU_DEP_2)
	s_and_saveexec_b32 s5, s0
; %bb.156:
	v_bfe_u32 v9, v7, 20, 1
	s_delay_alu instid0(VALU_DEP_1) | instskip(NEXT) | instid1(VALU_DEP_1)
	v_add_co_u32 v9, s0, v7, v9
	v_add_co_u32 v9, s0, v9, -1
; %bb.157:
	s_or_b32 exec_lo, exec_lo, s5
	v_add_nc_u32_e32 v10, 0xffffff81, v27
	v_lshrrev_b32_e32 v27, 23, v7
	s_delay_alu instid0(VALU_DEP_3) | instskip(SKIP_1) | instid1(VALU_DEP_3)
	v_and_b32_e32 v9, 0xfffff, v9
	s_mov_b32 s0, exec_lo
	v_cndmask_b32_e64 v10, v10, 0xffffff82, vcc_lo
	s_delay_alu instid0(VALU_DEP_2) | instskip(SKIP_1) | instid1(VALU_DEP_3)
	v_add_co_u32 v7, vcc_lo, v9, v7
	v_add_co_ci_u32_e32 v8, vcc_lo, 0, v8, vcc_lo
	v_add3_u32 v10, v30, v10, v27
                                        ; implicit-def: $vgpr9
	s_delay_alu instid0(VALU_DEP_1) | instskip(NEXT) | instid1(VALU_DEP_1)
	v_add_nc_u32_e32 v27, 6, v10
	v_cmpx_ne_u32_e32 0, v27
	s_xor_b32 s0, exec_lo, s0
; %bb.158:
	v_cmp_lt_u64_e32 vcc_lo, 0xffffff, v[7:8]
	v_add_nc_u32_e32 v9, 7, v10
	v_cndmask_b32_e64 v10, 0, 1, vcc_lo
	s_delay_alu instid0(VALU_DEP_2) | instskip(NEXT) | instid1(VALU_DEP_2)
	v_cndmask_b32_e32 v9, v27, v9, vcc_lo
	v_lshrrev_b64 v[7:8], v10, v[7:8]
; %bb.159:
	s_and_not1_saveexec_b32 s0, s0
; %bb.160:
	s_delay_alu instid0(VALU_DEP_1)
	v_bfe_u32 v9, v7, 23, 1
; %bb.161:
	s_or_b32 exec_lo, exec_lo, s0
	s_delay_alu instid0(VALU_DEP_2) | instskip(NEXT) | instid1(VALU_DEP_2)
	v_lshrrev_b64 v[7:8], 20, v[7:8]
	v_cmp_gt_i32_e32 vcc_lo, 16, v9
	v_cmp_ne_u32_e64 s0, 0, v9
                                        ; implicit-def: $vgpr27
	s_delay_alu instid0(VALU_DEP_3) | instskip(NEXT) | instid1(VALU_DEP_1)
	v_dual_cndmask_b32 v8, 0, v8 :: v_dual_cndmask_b32 v7, 7, v7
	v_cmp_ne_u64_e32 vcc_lo, 0, v[7:8]
	s_delay_alu instid0(VALU_DEP_3) | instskip(NEXT) | instid1(SALU_CYCLE_1)
	s_or_b32 s0, s0, vcc_lo
	s_and_saveexec_b32 s5, s0
	s_delay_alu instid0(SALU_CYCLE_1)
	s_xor_b32 s0, exec_lo, s5
; %bb.162:
	v_min_i32_e32 v8, 15, v9
	s_delay_alu instid0(VALU_DEP_1) | instskip(NEXT) | instid1(VALU_DEP_1)
	v_lshl_or_b32 v8, v8, 3, v29
                                        ; implicit-def: $vgpr29
	v_and_or_b32 v27, v7, 7, v8
; %bb.163:
	s_and_not1_saveexec_b32 s0, s0
; %bb.164:
	v_mov_b32_e32 v27, v29
; %bb.165:
	s_or_b32 exec_lo, exec_lo, s0
.LBB3_166:
	s_delay_alu instid0(SALU_CYCLE_1)
	s_or_b32 exec_lo, exec_lo, s4
.LBB3_167:
	s_and_not1_saveexec_b32 s0, s3
	s_delay_alu instid0(SALU_CYCLE_1)
	s_or_b32 exec_lo, exec_lo, s0
                                        ; implicit-def: $vgpr10
                                        ; implicit-def: $vgpr7_vgpr8
.LBB3_168:
	s_and_not1_saveexec_b32 s0, s2
; %bb.169:
	v_cmp_eq_u64_e32 vcc_lo, 0, v[7:8]
	v_or_b32_e32 v9, 0x7f, v10
	s_delay_alu instid0(VALU_DEP_1)
	v_cndmask_b32_e32 v27, v9, v27, vcc_lo
; %bb.170:
	s_or_b32 exec_lo, exec_lo, s0
	v_dual_mul_f32 v7, v14, v28 :: v_dual_mov_b32 v8, 0
	s_mov_b32 s0, 0xc3e00000
	s_delay_alu instid0(VALU_DEP_1) | instid1(SALU_CYCLE_1)
	v_maxmin_f32 v9, v7, s0, 0x43e00000
	s_mov_b32 s0, exec_lo
	s_delay_alu instid0(VALU_DEP_2) | instskip(NEXT) | instid1(VALU_DEP_2)
	v_mov_b32_e32 v31, v8
	v_lshrrev_b32_e32 v10, 24, v9
	v_and_b32_e32 v30, 0x7f800000, v9
	v_and_b32_e32 v7, 0x7fffff, v9
	s_delay_alu instid0(VALU_DEP_3) | instskip(NEXT) | instid1(VALU_DEP_1)
	v_and_b32_e32 v29, 0x80, v10
	v_or_b32_e32 v28, 0x7e, v29
	s_delay_alu instid0(VALU_DEP_4)
	v_cmpx_ne_u64_e32 0x7f800000, v[30:31]
	s_xor_b32 s2, exec_lo, s0
	s_cbranch_execz .LBB3_186
; %bb.171:
	v_dual_mov_b32 v31, v8 :: v_dual_and_b32 v30, 0x7fffffff, v9
	s_mov_b32 s0, exec_lo
	s_delay_alu instid0(VALU_DEP_1)
	v_cmpx_gt_u64_e32 0x43e00001, v[30:31]
	s_xor_b32 s3, exec_lo, s0
	s_cbranch_execz .LBB3_185
; %bb.172:
	v_mov_b32_e32 v28, 0
	s_mov_b32 s4, exec_lo
	v_cmpx_ne_u32_e32 0, v9
	s_cbranch_execz .LBB3_184
; %bb.173:
	v_bfe_u32 v28, v9, 23, 8
	v_or_b32_e32 v31, 0x800000, v7
	s_delay_alu instid0(VALU_DEP_2) | instskip(SKIP_1) | instid1(VALU_DEP_2)
	v_sub_nc_u32_e32 v9, 0x79, v28
	v_cmp_gt_u32_e32 vcc_lo, 0x7a, v28
	v_cndmask_b32_e32 v9, 0, v9, vcc_lo
	v_cmp_eq_u32_e32 vcc_lo, 0, v28
	s_delay_alu instid0(VALU_DEP_2) | instskip(SKIP_1) | instid1(VALU_DEP_2)
	v_cndmask_b32_e64 v30, v9, 0x78, vcc_lo
	v_cndmask_b32_e32 v7, v31, v7, vcc_lo
	v_add_nc_u32_e32 v9, 20, v30
	v_add_nc_u32_e32 v31, 19, v30
	s_delay_alu instid0(VALU_DEP_2) | instskip(NEXT) | instid1(VALU_DEP_1)
	v_lshlrev_b64 v[9:10], v9, -1
	v_not_b32_e32 v33, v9
	s_delay_alu instid0(VALU_DEP_2) | instskip(NEXT) | instid1(VALU_DEP_4)
	v_not_b32_e32 v32, v10
	v_lshlrev_b64 v[9:10], v31, 1
	s_delay_alu instid0(VALU_DEP_3) | instskip(SKIP_1) | instid1(VALU_DEP_4)
	v_and_b32_e32 v31, v7, v33
	v_lshrrev_b64 v[7:8], v30, v[7:8]
	v_and_b32_e32 v32, 0, v32
	s_delay_alu instid0(VALU_DEP_1) | instskip(NEXT) | instid1(VALU_DEP_3)
	v_cmp_eq_u64_e64 s0, v[31:32], v[9:10]
	v_dual_mov_b32 v10, v8 :: v_dual_mov_b32 v9, v7
	s_delay_alu instid0(VALU_DEP_2)
	s_and_saveexec_b32 s5, s0
; %bb.174:
	v_bfe_u32 v9, v7, 20, 1
	s_delay_alu instid0(VALU_DEP_1) | instskip(NEXT) | instid1(VALU_DEP_1)
	v_add_co_u32 v9, s0, v7, v9
	v_add_co_u32 v9, s0, v9, -1
; %bb.175:
	s_or_b32 exec_lo, exec_lo, s5
	v_add_nc_u32_e32 v10, 0xffffff81, v28
	v_lshrrev_b32_e32 v28, 23, v7
	s_delay_alu instid0(VALU_DEP_3) | instskip(SKIP_1) | instid1(VALU_DEP_3)
	v_and_b32_e32 v9, 0xfffff, v9
	s_mov_b32 s0, exec_lo
	v_cndmask_b32_e64 v10, v10, 0xffffff82, vcc_lo
	s_delay_alu instid0(VALU_DEP_2) | instskip(SKIP_1) | instid1(VALU_DEP_3)
	v_add_co_u32 v7, vcc_lo, v9, v7
	v_add_co_ci_u32_e32 v8, vcc_lo, 0, v8, vcc_lo
	v_add3_u32 v10, v30, v10, v28
                                        ; implicit-def: $vgpr9
	s_delay_alu instid0(VALU_DEP_1) | instskip(NEXT) | instid1(VALU_DEP_1)
	v_add_nc_u32_e32 v28, 6, v10
	v_cmpx_ne_u32_e32 0, v28
	s_xor_b32 s0, exec_lo, s0
; %bb.176:
	v_cmp_lt_u64_e32 vcc_lo, 0xffffff, v[7:8]
	v_add_nc_u32_e32 v9, 7, v10
	v_cndmask_b32_e64 v10, 0, 1, vcc_lo
	s_delay_alu instid0(VALU_DEP_2) | instskip(NEXT) | instid1(VALU_DEP_2)
	v_cndmask_b32_e32 v9, v28, v9, vcc_lo
	v_lshrrev_b64 v[7:8], v10, v[7:8]
; %bb.177:
	s_and_not1_saveexec_b32 s0, s0
; %bb.178:
	s_delay_alu instid0(VALU_DEP_1)
	v_bfe_u32 v9, v7, 23, 1
; %bb.179:
	s_or_b32 exec_lo, exec_lo, s0
	s_delay_alu instid0(VALU_DEP_2) | instskip(NEXT) | instid1(VALU_DEP_2)
	v_lshrrev_b64 v[7:8], 20, v[7:8]
	v_cmp_gt_i32_e32 vcc_lo, 16, v9
	v_cmp_ne_u32_e64 s0, 0, v9
                                        ; implicit-def: $vgpr28
	s_delay_alu instid0(VALU_DEP_3) | instskip(NEXT) | instid1(VALU_DEP_1)
	v_dual_cndmask_b32 v8, 0, v8 :: v_dual_cndmask_b32 v7, 7, v7
	v_cmp_ne_u64_e32 vcc_lo, 0, v[7:8]
	s_delay_alu instid0(VALU_DEP_3) | instskip(NEXT) | instid1(SALU_CYCLE_1)
	s_or_b32 s0, s0, vcc_lo
	s_and_saveexec_b32 s5, s0
	s_delay_alu instid0(SALU_CYCLE_1)
	s_xor_b32 s0, exec_lo, s5
; %bb.180:
	v_min_i32_e32 v8, 15, v9
	s_delay_alu instid0(VALU_DEP_1) | instskip(NEXT) | instid1(VALU_DEP_1)
	v_lshl_or_b32 v8, v8, 3, v29
                                        ; implicit-def: $vgpr29
	v_and_or_b32 v28, v7, 7, v8
; %bb.181:
	s_and_not1_saveexec_b32 s0, s0
; %bb.182:
	v_mov_b32_e32 v28, v29
; %bb.183:
	s_or_b32 exec_lo, exec_lo, s0
.LBB3_184:
	s_delay_alu instid0(SALU_CYCLE_1)
	s_or_b32 exec_lo, exec_lo, s4
.LBB3_185:
	s_and_not1_saveexec_b32 s0, s3
	s_delay_alu instid0(SALU_CYCLE_1)
	s_or_b32 exec_lo, exec_lo, s0
                                        ; implicit-def: $vgpr10
                                        ; implicit-def: $vgpr7_vgpr8
.LBB3_186:
	s_and_not1_saveexec_b32 s0, s2
; %bb.187:
	v_cmp_eq_u64_e32 vcc_lo, 0, v[7:8]
	v_or_b32_e32 v9, 0x7f, v10
	s_delay_alu instid0(VALU_DEP_1)
	v_cndmask_b32_e32 v28, v9, v28, vcc_lo
; %bb.188:
	s_or_b32 exec_lo, exec_lo, s0
	v_dual_mul_f32 v7, v14, v26 :: v_dual_mov_b32 v8, 0
	s_mov_b32 s0, 0xc3e00000
	s_delay_alu instid0(VALU_DEP_1) | instid1(SALU_CYCLE_1)
	v_maxmin_f32 v9, v7, s0, 0x43e00000
	s_mov_b32 s0, exec_lo
	s_delay_alu instid0(VALU_DEP_2) | instskip(NEXT) | instid1(VALU_DEP_2)
	v_mov_b32_e32 v31, v8
	v_lshrrev_b32_e32 v10, 24, v9
	v_and_b32_e32 v30, 0x7f800000, v9
	v_and_b32_e32 v7, 0x7fffff, v9
	s_delay_alu instid0(VALU_DEP_3) | instskip(NEXT) | instid1(VALU_DEP_1)
	v_and_b32_e32 v29, 0x80, v10
	v_or_b32_e32 v26, 0x7e, v29
	s_delay_alu instid0(VALU_DEP_4)
	v_cmpx_ne_u64_e32 0x7f800000, v[30:31]
	s_xor_b32 s2, exec_lo, s0
	s_cbranch_execz .LBB3_204
; %bb.189:
	v_dual_mov_b32 v31, v8 :: v_dual_and_b32 v30, 0x7fffffff, v9
	s_mov_b32 s0, exec_lo
	s_delay_alu instid0(VALU_DEP_1)
	v_cmpx_gt_u64_e32 0x43e00001, v[30:31]
	s_xor_b32 s3, exec_lo, s0
	s_cbranch_execz .LBB3_203
; %bb.190:
	v_mov_b32_e32 v26, 0
	s_mov_b32 s4, exec_lo
	v_cmpx_ne_u32_e32 0, v9
	s_cbranch_execz .LBB3_202
; %bb.191:
	v_bfe_u32 v26, v9, 23, 8
	v_or_b32_e32 v31, 0x800000, v7
	s_delay_alu instid0(VALU_DEP_2) | instskip(SKIP_1) | instid1(VALU_DEP_2)
	v_sub_nc_u32_e32 v9, 0x79, v26
	v_cmp_gt_u32_e32 vcc_lo, 0x7a, v26
	v_cndmask_b32_e32 v9, 0, v9, vcc_lo
	v_cmp_eq_u32_e32 vcc_lo, 0, v26
	s_delay_alu instid0(VALU_DEP_2) | instskip(SKIP_1) | instid1(VALU_DEP_2)
	v_cndmask_b32_e64 v30, v9, 0x78, vcc_lo
	v_cndmask_b32_e32 v7, v31, v7, vcc_lo
	v_add_nc_u32_e32 v9, 20, v30
	v_add_nc_u32_e32 v31, 19, v30
	s_delay_alu instid0(VALU_DEP_2) | instskip(NEXT) | instid1(VALU_DEP_1)
	v_lshlrev_b64 v[9:10], v9, -1
	v_not_b32_e32 v33, v9
	s_delay_alu instid0(VALU_DEP_2) | instskip(NEXT) | instid1(VALU_DEP_4)
	v_not_b32_e32 v32, v10
	v_lshlrev_b64 v[9:10], v31, 1
	s_delay_alu instid0(VALU_DEP_3) | instskip(SKIP_1) | instid1(VALU_DEP_4)
	v_and_b32_e32 v31, v7, v33
	v_lshrrev_b64 v[7:8], v30, v[7:8]
	v_and_b32_e32 v32, 0, v32
	s_delay_alu instid0(VALU_DEP_1) | instskip(NEXT) | instid1(VALU_DEP_3)
	v_cmp_eq_u64_e64 s0, v[31:32], v[9:10]
	v_dual_mov_b32 v10, v8 :: v_dual_mov_b32 v9, v7
	s_delay_alu instid0(VALU_DEP_2)
	s_and_saveexec_b32 s5, s0
; %bb.192:
	v_bfe_u32 v9, v7, 20, 1
	s_delay_alu instid0(VALU_DEP_1) | instskip(NEXT) | instid1(VALU_DEP_1)
	v_add_co_u32 v9, s0, v7, v9
	v_add_co_u32 v9, s0, v9, -1
; %bb.193:
	s_or_b32 exec_lo, exec_lo, s5
	v_add_nc_u32_e32 v10, 0xffffff81, v26
	v_lshrrev_b32_e32 v26, 23, v7
	s_delay_alu instid0(VALU_DEP_3) | instskip(SKIP_1) | instid1(VALU_DEP_3)
	v_and_b32_e32 v9, 0xfffff, v9
	s_mov_b32 s0, exec_lo
	v_cndmask_b32_e64 v10, v10, 0xffffff82, vcc_lo
	s_delay_alu instid0(VALU_DEP_2) | instskip(SKIP_1) | instid1(VALU_DEP_3)
	v_add_co_u32 v7, vcc_lo, v9, v7
	v_add_co_ci_u32_e32 v8, vcc_lo, 0, v8, vcc_lo
	v_add3_u32 v10, v30, v10, v26
                                        ; implicit-def: $vgpr9
	s_delay_alu instid0(VALU_DEP_1) | instskip(NEXT) | instid1(VALU_DEP_1)
	v_add_nc_u32_e32 v26, 6, v10
	v_cmpx_ne_u32_e32 0, v26
	s_xor_b32 s0, exec_lo, s0
; %bb.194:
	v_cmp_lt_u64_e32 vcc_lo, 0xffffff, v[7:8]
	v_add_nc_u32_e32 v9, 7, v10
	v_cndmask_b32_e64 v10, 0, 1, vcc_lo
	s_delay_alu instid0(VALU_DEP_2) | instskip(NEXT) | instid1(VALU_DEP_2)
	v_cndmask_b32_e32 v9, v26, v9, vcc_lo
	v_lshrrev_b64 v[7:8], v10, v[7:8]
; %bb.195:
	s_and_not1_saveexec_b32 s0, s0
; %bb.196:
	s_delay_alu instid0(VALU_DEP_1)
	v_bfe_u32 v9, v7, 23, 1
; %bb.197:
	s_or_b32 exec_lo, exec_lo, s0
	s_delay_alu instid0(VALU_DEP_2) | instskip(NEXT) | instid1(VALU_DEP_2)
	v_lshrrev_b64 v[7:8], 20, v[7:8]
	v_cmp_gt_i32_e32 vcc_lo, 16, v9
	v_cmp_ne_u32_e64 s0, 0, v9
                                        ; implicit-def: $vgpr26
	s_delay_alu instid0(VALU_DEP_3) | instskip(NEXT) | instid1(VALU_DEP_1)
	v_dual_cndmask_b32 v8, 0, v8 :: v_dual_cndmask_b32 v7, 7, v7
	v_cmp_ne_u64_e32 vcc_lo, 0, v[7:8]
	s_delay_alu instid0(VALU_DEP_3) | instskip(NEXT) | instid1(SALU_CYCLE_1)
	s_or_b32 s0, s0, vcc_lo
	s_and_saveexec_b32 s5, s0
	s_delay_alu instid0(SALU_CYCLE_1)
	s_xor_b32 s0, exec_lo, s5
; %bb.198:
	v_min_i32_e32 v8, 15, v9
	s_delay_alu instid0(VALU_DEP_1) | instskip(NEXT) | instid1(VALU_DEP_1)
	v_lshl_or_b32 v8, v8, 3, v29
                                        ; implicit-def: $vgpr29
	v_and_or_b32 v26, v7, 7, v8
; %bb.199:
	s_and_not1_saveexec_b32 s0, s0
; %bb.200:
	v_mov_b32_e32 v26, v29
; %bb.201:
	s_or_b32 exec_lo, exec_lo, s0
.LBB3_202:
	s_delay_alu instid0(SALU_CYCLE_1)
	s_or_b32 exec_lo, exec_lo, s4
.LBB3_203:
	s_and_not1_saveexec_b32 s0, s3
	s_delay_alu instid0(SALU_CYCLE_1)
	s_or_b32 exec_lo, exec_lo, s0
                                        ; implicit-def: $vgpr10
                                        ; implicit-def: $vgpr7_vgpr8
.LBB3_204:
	s_and_not1_saveexec_b32 s0, s2
; %bb.205:
	v_cmp_eq_u64_e32 vcc_lo, 0, v[7:8]
	v_or_b32_e32 v9, 0x7f, v10
	s_delay_alu instid0(VALU_DEP_1)
	v_cndmask_b32_e32 v26, v9, v26, vcc_lo
; %bb.206:
	s_or_b32 exec_lo, exec_lo, s0
	v_dual_mul_f32 v7, v14, v24 :: v_dual_mov_b32 v8, 0
	s_mov_b32 s0, 0xc3e00000
	s_delay_alu instid0(VALU_DEP_1) | instid1(SALU_CYCLE_1)
	v_maxmin_f32 v9, v7, s0, 0x43e00000
	s_mov_b32 s0, exec_lo
	s_delay_alu instid0(VALU_DEP_2) | instskip(NEXT) | instid1(VALU_DEP_2)
	v_mov_b32_e32 v31, v8
	v_lshrrev_b32_e32 v10, 24, v9
	v_and_b32_e32 v30, 0x7f800000, v9
	v_and_b32_e32 v7, 0x7fffff, v9
	s_delay_alu instid0(VALU_DEP_3) | instskip(NEXT) | instid1(VALU_DEP_1)
	v_and_b32_e32 v29, 0x80, v10
	v_or_b32_e32 v24, 0x7e, v29
	s_delay_alu instid0(VALU_DEP_4)
	v_cmpx_ne_u64_e32 0x7f800000, v[30:31]
	s_xor_b32 s2, exec_lo, s0
	s_cbranch_execz .LBB3_222
; %bb.207:
	v_dual_mov_b32 v31, v8 :: v_dual_and_b32 v30, 0x7fffffff, v9
	s_mov_b32 s0, exec_lo
	s_delay_alu instid0(VALU_DEP_1)
	v_cmpx_gt_u64_e32 0x43e00001, v[30:31]
	s_xor_b32 s3, exec_lo, s0
	s_cbranch_execz .LBB3_221
; %bb.208:
	v_mov_b32_e32 v24, 0
	s_mov_b32 s4, exec_lo
	v_cmpx_ne_u32_e32 0, v9
	s_cbranch_execz .LBB3_220
; %bb.209:
	v_bfe_u32 v24, v9, 23, 8
	v_or_b32_e32 v31, 0x800000, v7
	s_delay_alu instid0(VALU_DEP_2) | instskip(SKIP_1) | instid1(VALU_DEP_2)
	v_sub_nc_u32_e32 v9, 0x79, v24
	v_cmp_gt_u32_e32 vcc_lo, 0x7a, v24
	v_cndmask_b32_e32 v9, 0, v9, vcc_lo
	v_cmp_eq_u32_e32 vcc_lo, 0, v24
	s_delay_alu instid0(VALU_DEP_2) | instskip(SKIP_1) | instid1(VALU_DEP_2)
	v_cndmask_b32_e64 v30, v9, 0x78, vcc_lo
	v_cndmask_b32_e32 v7, v31, v7, vcc_lo
	v_add_nc_u32_e32 v9, 20, v30
	v_add_nc_u32_e32 v31, 19, v30
	s_delay_alu instid0(VALU_DEP_2) | instskip(NEXT) | instid1(VALU_DEP_1)
	v_lshlrev_b64 v[9:10], v9, -1
	v_not_b32_e32 v33, v9
	s_delay_alu instid0(VALU_DEP_2) | instskip(NEXT) | instid1(VALU_DEP_4)
	v_not_b32_e32 v32, v10
	v_lshlrev_b64 v[9:10], v31, 1
	s_delay_alu instid0(VALU_DEP_3) | instskip(SKIP_1) | instid1(VALU_DEP_4)
	v_and_b32_e32 v31, v7, v33
	v_lshrrev_b64 v[7:8], v30, v[7:8]
	v_and_b32_e32 v32, 0, v32
	s_delay_alu instid0(VALU_DEP_1) | instskip(NEXT) | instid1(VALU_DEP_3)
	v_cmp_eq_u64_e64 s0, v[31:32], v[9:10]
	v_dual_mov_b32 v10, v8 :: v_dual_mov_b32 v9, v7
	s_delay_alu instid0(VALU_DEP_2)
	s_and_saveexec_b32 s5, s0
; %bb.210:
	v_bfe_u32 v9, v7, 20, 1
	s_delay_alu instid0(VALU_DEP_1) | instskip(NEXT) | instid1(VALU_DEP_1)
	v_add_co_u32 v9, s0, v7, v9
	v_add_co_u32 v9, s0, v9, -1
; %bb.211:
	s_or_b32 exec_lo, exec_lo, s5
	v_add_nc_u32_e32 v10, 0xffffff81, v24
	v_lshrrev_b32_e32 v24, 23, v7
	s_delay_alu instid0(VALU_DEP_3) | instskip(SKIP_1) | instid1(VALU_DEP_3)
	v_and_b32_e32 v9, 0xfffff, v9
	s_mov_b32 s0, exec_lo
	v_cndmask_b32_e64 v10, v10, 0xffffff82, vcc_lo
	s_delay_alu instid0(VALU_DEP_2) | instskip(SKIP_1) | instid1(VALU_DEP_3)
	v_add_co_u32 v7, vcc_lo, v9, v7
	v_add_co_ci_u32_e32 v8, vcc_lo, 0, v8, vcc_lo
	v_add3_u32 v10, v30, v10, v24
                                        ; implicit-def: $vgpr9
	s_delay_alu instid0(VALU_DEP_1) | instskip(NEXT) | instid1(VALU_DEP_1)
	v_add_nc_u32_e32 v24, 6, v10
	v_cmpx_ne_u32_e32 0, v24
	s_xor_b32 s0, exec_lo, s0
; %bb.212:
	v_cmp_lt_u64_e32 vcc_lo, 0xffffff, v[7:8]
	v_add_nc_u32_e32 v9, 7, v10
	v_cndmask_b32_e64 v10, 0, 1, vcc_lo
	s_delay_alu instid0(VALU_DEP_2) | instskip(NEXT) | instid1(VALU_DEP_2)
	v_cndmask_b32_e32 v9, v24, v9, vcc_lo
	v_lshrrev_b64 v[7:8], v10, v[7:8]
; %bb.213:
	s_and_not1_saveexec_b32 s0, s0
; %bb.214:
	s_delay_alu instid0(VALU_DEP_1)
	v_bfe_u32 v9, v7, 23, 1
; %bb.215:
	s_or_b32 exec_lo, exec_lo, s0
	s_delay_alu instid0(VALU_DEP_2) | instskip(NEXT) | instid1(VALU_DEP_2)
	v_lshrrev_b64 v[7:8], 20, v[7:8]
	v_cmp_gt_i32_e32 vcc_lo, 16, v9
	v_cmp_ne_u32_e64 s0, 0, v9
                                        ; implicit-def: $vgpr24
	s_delay_alu instid0(VALU_DEP_3) | instskip(NEXT) | instid1(VALU_DEP_1)
	v_dual_cndmask_b32 v8, 0, v8 :: v_dual_cndmask_b32 v7, 7, v7
	v_cmp_ne_u64_e32 vcc_lo, 0, v[7:8]
	s_delay_alu instid0(VALU_DEP_3) | instskip(NEXT) | instid1(SALU_CYCLE_1)
	s_or_b32 s0, s0, vcc_lo
	s_and_saveexec_b32 s5, s0
	s_delay_alu instid0(SALU_CYCLE_1)
	s_xor_b32 s0, exec_lo, s5
; %bb.216:
	v_min_i32_e32 v8, 15, v9
	s_delay_alu instid0(VALU_DEP_1) | instskip(NEXT) | instid1(VALU_DEP_1)
	v_lshl_or_b32 v8, v8, 3, v29
                                        ; implicit-def: $vgpr29
	v_and_or_b32 v24, v7, 7, v8
; %bb.217:
	s_and_not1_saveexec_b32 s0, s0
; %bb.218:
	v_mov_b32_e32 v24, v29
; %bb.219:
	s_or_b32 exec_lo, exec_lo, s0
.LBB3_220:
	s_delay_alu instid0(SALU_CYCLE_1)
	s_or_b32 exec_lo, exec_lo, s4
.LBB3_221:
	s_and_not1_saveexec_b32 s0, s3
	s_delay_alu instid0(SALU_CYCLE_1)
	s_or_b32 exec_lo, exec_lo, s0
                                        ; implicit-def: $vgpr10
                                        ; implicit-def: $vgpr7_vgpr8
.LBB3_222:
	s_and_not1_saveexec_b32 s0, s2
; %bb.223:
	v_cmp_eq_u64_e32 vcc_lo, 0, v[7:8]
	v_or_b32_e32 v9, 0x7f, v10
	s_delay_alu instid0(VALU_DEP_1)
	v_cndmask_b32_e32 v24, v9, v24, vcc_lo
; %bb.224:
	s_or_b32 exec_lo, exec_lo, s0
	v_dual_mul_f32 v7, v14, v23 :: v_dual_mov_b32 v8, 0
	s_mov_b32 s0, 0xc3e00000
	s_delay_alu instid0(VALU_DEP_1) | instid1(SALU_CYCLE_1)
	v_maxmin_f32 v9, v7, s0, 0x43e00000
	s_mov_b32 s0, exec_lo
	s_delay_alu instid0(VALU_DEP_2) | instskip(NEXT) | instid1(VALU_DEP_2)
	v_mov_b32_e32 v31, v8
	v_lshrrev_b32_e32 v10, 24, v9
	v_and_b32_e32 v30, 0x7f800000, v9
	v_and_b32_e32 v7, 0x7fffff, v9
	s_delay_alu instid0(VALU_DEP_3) | instskip(NEXT) | instid1(VALU_DEP_1)
	v_and_b32_e32 v29, 0x80, v10
	v_or_b32_e32 v23, 0x7e, v29
	s_delay_alu instid0(VALU_DEP_4)
	v_cmpx_ne_u64_e32 0x7f800000, v[30:31]
	s_xor_b32 s2, exec_lo, s0
	s_cbranch_execz .LBB3_240
; %bb.225:
	v_dual_mov_b32 v31, v8 :: v_dual_and_b32 v30, 0x7fffffff, v9
	s_mov_b32 s0, exec_lo
	s_delay_alu instid0(VALU_DEP_1)
	v_cmpx_gt_u64_e32 0x43e00001, v[30:31]
	s_xor_b32 s3, exec_lo, s0
	s_cbranch_execz .LBB3_239
; %bb.226:
	v_mov_b32_e32 v23, 0
	s_mov_b32 s4, exec_lo
	v_cmpx_ne_u32_e32 0, v9
	s_cbranch_execz .LBB3_238
; %bb.227:
	v_bfe_u32 v23, v9, 23, 8
	v_or_b32_e32 v31, 0x800000, v7
	s_delay_alu instid0(VALU_DEP_2) | instskip(SKIP_1) | instid1(VALU_DEP_2)
	v_sub_nc_u32_e32 v9, 0x79, v23
	v_cmp_gt_u32_e32 vcc_lo, 0x7a, v23
	v_cndmask_b32_e32 v9, 0, v9, vcc_lo
	v_cmp_eq_u32_e32 vcc_lo, 0, v23
	s_delay_alu instid0(VALU_DEP_2) | instskip(SKIP_1) | instid1(VALU_DEP_2)
	v_cndmask_b32_e64 v30, v9, 0x78, vcc_lo
	v_cndmask_b32_e32 v7, v31, v7, vcc_lo
	v_add_nc_u32_e32 v9, 20, v30
	v_add_nc_u32_e32 v31, 19, v30
	s_delay_alu instid0(VALU_DEP_2) | instskip(NEXT) | instid1(VALU_DEP_1)
	v_lshlrev_b64 v[9:10], v9, -1
	v_not_b32_e32 v33, v9
	s_delay_alu instid0(VALU_DEP_2) | instskip(NEXT) | instid1(VALU_DEP_4)
	v_not_b32_e32 v32, v10
	v_lshlrev_b64 v[9:10], v31, 1
	s_delay_alu instid0(VALU_DEP_3) | instskip(SKIP_1) | instid1(VALU_DEP_4)
	v_and_b32_e32 v31, v7, v33
	v_lshrrev_b64 v[7:8], v30, v[7:8]
	v_and_b32_e32 v32, 0, v32
	s_delay_alu instid0(VALU_DEP_1) | instskip(NEXT) | instid1(VALU_DEP_3)
	v_cmp_eq_u64_e64 s0, v[31:32], v[9:10]
	v_dual_mov_b32 v10, v8 :: v_dual_mov_b32 v9, v7
	s_delay_alu instid0(VALU_DEP_2)
	s_and_saveexec_b32 s5, s0
; %bb.228:
	v_bfe_u32 v9, v7, 20, 1
	s_delay_alu instid0(VALU_DEP_1) | instskip(NEXT) | instid1(VALU_DEP_1)
	v_add_co_u32 v9, s0, v7, v9
	v_add_co_u32 v9, s0, v9, -1
; %bb.229:
	s_or_b32 exec_lo, exec_lo, s5
	v_add_nc_u32_e32 v10, 0xffffff81, v23
	v_lshrrev_b32_e32 v23, 23, v7
	s_delay_alu instid0(VALU_DEP_3) | instskip(SKIP_1) | instid1(VALU_DEP_3)
	v_and_b32_e32 v9, 0xfffff, v9
	s_mov_b32 s0, exec_lo
	v_cndmask_b32_e64 v10, v10, 0xffffff82, vcc_lo
	s_delay_alu instid0(VALU_DEP_2) | instskip(SKIP_1) | instid1(VALU_DEP_3)
	v_add_co_u32 v7, vcc_lo, v9, v7
	v_add_co_ci_u32_e32 v8, vcc_lo, 0, v8, vcc_lo
	v_add3_u32 v10, v30, v10, v23
                                        ; implicit-def: $vgpr9
	s_delay_alu instid0(VALU_DEP_1) | instskip(NEXT) | instid1(VALU_DEP_1)
	v_add_nc_u32_e32 v23, 6, v10
	v_cmpx_ne_u32_e32 0, v23
	s_xor_b32 s0, exec_lo, s0
; %bb.230:
	v_cmp_lt_u64_e32 vcc_lo, 0xffffff, v[7:8]
	v_add_nc_u32_e32 v9, 7, v10
	v_cndmask_b32_e64 v10, 0, 1, vcc_lo
	s_delay_alu instid0(VALU_DEP_2) | instskip(NEXT) | instid1(VALU_DEP_2)
	v_cndmask_b32_e32 v9, v23, v9, vcc_lo
	v_lshrrev_b64 v[7:8], v10, v[7:8]
; %bb.231:
	s_and_not1_saveexec_b32 s0, s0
; %bb.232:
	s_delay_alu instid0(VALU_DEP_1)
	v_bfe_u32 v9, v7, 23, 1
; %bb.233:
	s_or_b32 exec_lo, exec_lo, s0
	s_delay_alu instid0(VALU_DEP_2) | instskip(NEXT) | instid1(VALU_DEP_2)
	v_lshrrev_b64 v[7:8], 20, v[7:8]
	v_cmp_gt_i32_e32 vcc_lo, 16, v9
	v_cmp_ne_u32_e64 s0, 0, v9
                                        ; implicit-def: $vgpr23
	s_delay_alu instid0(VALU_DEP_3) | instskip(NEXT) | instid1(VALU_DEP_1)
	v_dual_cndmask_b32 v8, 0, v8 :: v_dual_cndmask_b32 v7, 7, v7
	v_cmp_ne_u64_e32 vcc_lo, 0, v[7:8]
	s_delay_alu instid0(VALU_DEP_3) | instskip(NEXT) | instid1(SALU_CYCLE_1)
	s_or_b32 s0, s0, vcc_lo
	s_and_saveexec_b32 s5, s0
	s_delay_alu instid0(SALU_CYCLE_1)
	s_xor_b32 s0, exec_lo, s5
; %bb.234:
	v_min_i32_e32 v8, 15, v9
	s_delay_alu instid0(VALU_DEP_1) | instskip(NEXT) | instid1(VALU_DEP_1)
	v_lshl_or_b32 v8, v8, 3, v29
                                        ; implicit-def: $vgpr29
	v_and_or_b32 v23, v7, 7, v8
; %bb.235:
	s_and_not1_saveexec_b32 s0, s0
; %bb.236:
	v_mov_b32_e32 v23, v29
; %bb.237:
	s_or_b32 exec_lo, exec_lo, s0
.LBB3_238:
	s_delay_alu instid0(SALU_CYCLE_1)
	s_or_b32 exec_lo, exec_lo, s4
.LBB3_239:
	s_and_not1_saveexec_b32 s0, s3
	s_delay_alu instid0(SALU_CYCLE_1)
	s_or_b32 exec_lo, exec_lo, s0
                                        ; implicit-def: $vgpr10
                                        ; implicit-def: $vgpr7_vgpr8
.LBB3_240:
	s_and_not1_saveexec_b32 s0, s2
; %bb.241:
	v_cmp_eq_u64_e32 vcc_lo, 0, v[7:8]
	v_or_b32_e32 v9, 0x7f, v10
	s_delay_alu instid0(VALU_DEP_1)
	v_cndmask_b32_e32 v23, v9, v23, vcc_lo
; %bb.242:
	s_or_b32 exec_lo, exec_lo, s0
	v_dual_mul_f32 v7, v14, v22 :: v_dual_mov_b32 v8, 0
	s_mov_b32 s0, 0xc3e00000
	s_delay_alu instid0(VALU_DEP_1) | instid1(SALU_CYCLE_1)
	v_maxmin_f32 v9, v7, s0, 0x43e00000
	s_mov_b32 s0, exec_lo
	s_delay_alu instid0(VALU_DEP_2) | instskip(NEXT) | instid1(VALU_DEP_2)
	v_mov_b32_e32 v31, v8
	v_lshrrev_b32_e32 v10, 24, v9
	v_and_b32_e32 v30, 0x7f800000, v9
	v_and_b32_e32 v7, 0x7fffff, v9
	s_delay_alu instid0(VALU_DEP_3) | instskip(NEXT) | instid1(VALU_DEP_1)
	v_and_b32_e32 v29, 0x80, v10
	v_or_b32_e32 v22, 0x7e, v29
	s_delay_alu instid0(VALU_DEP_4)
	v_cmpx_ne_u64_e32 0x7f800000, v[30:31]
	s_xor_b32 s2, exec_lo, s0
	s_cbranch_execz .LBB3_258
; %bb.243:
	v_dual_mov_b32 v31, v8 :: v_dual_and_b32 v30, 0x7fffffff, v9
	s_mov_b32 s0, exec_lo
	s_delay_alu instid0(VALU_DEP_1)
	v_cmpx_gt_u64_e32 0x43e00001, v[30:31]
	s_xor_b32 s3, exec_lo, s0
	s_cbranch_execz .LBB3_257
; %bb.244:
	v_mov_b32_e32 v22, 0
	s_mov_b32 s4, exec_lo
	v_cmpx_ne_u32_e32 0, v9
	s_cbranch_execz .LBB3_256
; %bb.245:
	v_bfe_u32 v22, v9, 23, 8
	v_or_b32_e32 v31, 0x800000, v7
	s_delay_alu instid0(VALU_DEP_2) | instskip(SKIP_1) | instid1(VALU_DEP_2)
	v_sub_nc_u32_e32 v9, 0x79, v22
	v_cmp_gt_u32_e32 vcc_lo, 0x7a, v22
	v_cndmask_b32_e32 v9, 0, v9, vcc_lo
	v_cmp_eq_u32_e32 vcc_lo, 0, v22
	s_delay_alu instid0(VALU_DEP_2) | instskip(SKIP_1) | instid1(VALU_DEP_2)
	v_cndmask_b32_e64 v30, v9, 0x78, vcc_lo
	v_cndmask_b32_e32 v7, v31, v7, vcc_lo
	v_add_nc_u32_e32 v9, 20, v30
	v_add_nc_u32_e32 v31, 19, v30
	s_delay_alu instid0(VALU_DEP_2) | instskip(NEXT) | instid1(VALU_DEP_1)
	v_lshlrev_b64 v[9:10], v9, -1
	v_not_b32_e32 v33, v9
	s_delay_alu instid0(VALU_DEP_2) | instskip(NEXT) | instid1(VALU_DEP_4)
	v_not_b32_e32 v32, v10
	v_lshlrev_b64 v[9:10], v31, 1
	s_delay_alu instid0(VALU_DEP_3) | instskip(SKIP_1) | instid1(VALU_DEP_4)
	v_and_b32_e32 v31, v7, v33
	v_lshrrev_b64 v[7:8], v30, v[7:8]
	v_and_b32_e32 v32, 0, v32
	s_delay_alu instid0(VALU_DEP_1) | instskip(NEXT) | instid1(VALU_DEP_3)
	v_cmp_eq_u64_e64 s0, v[31:32], v[9:10]
	v_dual_mov_b32 v10, v8 :: v_dual_mov_b32 v9, v7
	s_delay_alu instid0(VALU_DEP_2)
	s_and_saveexec_b32 s5, s0
; %bb.246:
	v_bfe_u32 v9, v7, 20, 1
	s_delay_alu instid0(VALU_DEP_1) | instskip(NEXT) | instid1(VALU_DEP_1)
	v_add_co_u32 v9, s0, v7, v9
	v_add_co_u32 v9, s0, v9, -1
; %bb.247:
	s_or_b32 exec_lo, exec_lo, s5
	v_add_nc_u32_e32 v10, 0xffffff81, v22
	v_lshrrev_b32_e32 v22, 23, v7
	s_delay_alu instid0(VALU_DEP_3) | instskip(SKIP_1) | instid1(VALU_DEP_3)
	v_and_b32_e32 v9, 0xfffff, v9
	s_mov_b32 s0, exec_lo
	v_cndmask_b32_e64 v10, v10, 0xffffff82, vcc_lo
	s_delay_alu instid0(VALU_DEP_2) | instskip(SKIP_1) | instid1(VALU_DEP_3)
	v_add_co_u32 v7, vcc_lo, v9, v7
	v_add_co_ci_u32_e32 v8, vcc_lo, 0, v8, vcc_lo
	v_add3_u32 v10, v30, v10, v22
                                        ; implicit-def: $vgpr9
	s_delay_alu instid0(VALU_DEP_1) | instskip(NEXT) | instid1(VALU_DEP_1)
	v_add_nc_u32_e32 v22, 6, v10
	v_cmpx_ne_u32_e32 0, v22
	s_xor_b32 s0, exec_lo, s0
; %bb.248:
	v_cmp_lt_u64_e32 vcc_lo, 0xffffff, v[7:8]
	v_add_nc_u32_e32 v9, 7, v10
	v_cndmask_b32_e64 v10, 0, 1, vcc_lo
	s_delay_alu instid0(VALU_DEP_2) | instskip(NEXT) | instid1(VALU_DEP_2)
	v_cndmask_b32_e32 v9, v22, v9, vcc_lo
	v_lshrrev_b64 v[7:8], v10, v[7:8]
; %bb.249:
	s_and_not1_saveexec_b32 s0, s0
; %bb.250:
	s_delay_alu instid0(VALU_DEP_1)
	v_bfe_u32 v9, v7, 23, 1
; %bb.251:
	s_or_b32 exec_lo, exec_lo, s0
	s_delay_alu instid0(VALU_DEP_2) | instskip(NEXT) | instid1(VALU_DEP_2)
	v_lshrrev_b64 v[7:8], 20, v[7:8]
	v_cmp_gt_i32_e32 vcc_lo, 16, v9
	v_cmp_ne_u32_e64 s0, 0, v9
                                        ; implicit-def: $vgpr22
	s_delay_alu instid0(VALU_DEP_3) | instskip(NEXT) | instid1(VALU_DEP_1)
	v_dual_cndmask_b32 v8, 0, v8 :: v_dual_cndmask_b32 v7, 7, v7
	v_cmp_ne_u64_e32 vcc_lo, 0, v[7:8]
	s_delay_alu instid0(VALU_DEP_3) | instskip(NEXT) | instid1(SALU_CYCLE_1)
	s_or_b32 s0, s0, vcc_lo
	s_and_saveexec_b32 s5, s0
	s_delay_alu instid0(SALU_CYCLE_1)
	s_xor_b32 s0, exec_lo, s5
; %bb.252:
	v_min_i32_e32 v8, 15, v9
	s_delay_alu instid0(VALU_DEP_1) | instskip(NEXT) | instid1(VALU_DEP_1)
	v_lshl_or_b32 v8, v8, 3, v29
                                        ; implicit-def: $vgpr29
	v_and_or_b32 v22, v7, 7, v8
; %bb.253:
	s_and_not1_saveexec_b32 s0, s0
; %bb.254:
	v_mov_b32_e32 v22, v29
; %bb.255:
	s_or_b32 exec_lo, exec_lo, s0
.LBB3_256:
	s_delay_alu instid0(SALU_CYCLE_1)
	s_or_b32 exec_lo, exec_lo, s4
.LBB3_257:
	s_and_not1_saveexec_b32 s0, s3
	s_delay_alu instid0(SALU_CYCLE_1)
	s_or_b32 exec_lo, exec_lo, s0
                                        ; implicit-def: $vgpr10
                                        ; implicit-def: $vgpr7_vgpr8
.LBB3_258:
	s_and_not1_saveexec_b32 s0, s2
; %bb.259:
	v_cmp_eq_u64_e32 vcc_lo, 0, v[7:8]
	v_or_b32_e32 v9, 0x7f, v10
	s_delay_alu instid0(VALU_DEP_1)
	v_cndmask_b32_e32 v22, v9, v22, vcc_lo
; %bb.260:
	s_or_b32 exec_lo, exec_lo, s0
	v_dual_mul_f32 v7, v14, v21 :: v_dual_mov_b32 v8, 0
	s_mov_b32 s0, 0xc3e00000
	s_delay_alu instid0(VALU_DEP_1) | instid1(SALU_CYCLE_1)
	v_maxmin_f32 v9, v7, s0, 0x43e00000
	s_mov_b32 s0, exec_lo
	s_delay_alu instid0(VALU_DEP_2) | instskip(NEXT) | instid1(VALU_DEP_2)
	v_mov_b32_e32 v31, v8
	v_lshrrev_b32_e32 v10, 24, v9
	v_and_b32_e32 v30, 0x7f800000, v9
	v_and_b32_e32 v7, 0x7fffff, v9
	s_delay_alu instid0(VALU_DEP_3) | instskip(NEXT) | instid1(VALU_DEP_1)
	v_and_b32_e32 v29, 0x80, v10
	v_or_b32_e32 v21, 0x7e, v29
	s_delay_alu instid0(VALU_DEP_4)
	v_cmpx_ne_u64_e32 0x7f800000, v[30:31]
	s_xor_b32 s2, exec_lo, s0
	s_cbranch_execz .LBB3_276
; %bb.261:
	v_dual_mov_b32 v31, v8 :: v_dual_and_b32 v30, 0x7fffffff, v9
	s_mov_b32 s0, exec_lo
	s_delay_alu instid0(VALU_DEP_1)
	v_cmpx_gt_u64_e32 0x43e00001, v[30:31]
	s_xor_b32 s3, exec_lo, s0
	s_cbranch_execz .LBB3_275
; %bb.262:
	v_mov_b32_e32 v21, 0
	s_mov_b32 s4, exec_lo
	v_cmpx_ne_u32_e32 0, v9
	s_cbranch_execz .LBB3_274
; %bb.263:
	v_bfe_u32 v21, v9, 23, 8
	v_or_b32_e32 v31, 0x800000, v7
	s_delay_alu instid0(VALU_DEP_2) | instskip(SKIP_1) | instid1(VALU_DEP_2)
	v_sub_nc_u32_e32 v9, 0x79, v21
	v_cmp_gt_u32_e32 vcc_lo, 0x7a, v21
	v_cndmask_b32_e32 v9, 0, v9, vcc_lo
	v_cmp_eq_u32_e32 vcc_lo, 0, v21
	s_delay_alu instid0(VALU_DEP_2) | instskip(SKIP_1) | instid1(VALU_DEP_2)
	v_cndmask_b32_e64 v30, v9, 0x78, vcc_lo
	v_cndmask_b32_e32 v7, v31, v7, vcc_lo
	v_add_nc_u32_e32 v9, 20, v30
	v_add_nc_u32_e32 v31, 19, v30
	s_delay_alu instid0(VALU_DEP_2) | instskip(NEXT) | instid1(VALU_DEP_1)
	v_lshlrev_b64 v[9:10], v9, -1
	v_not_b32_e32 v33, v9
	s_delay_alu instid0(VALU_DEP_2) | instskip(NEXT) | instid1(VALU_DEP_4)
	v_not_b32_e32 v32, v10
	v_lshlrev_b64 v[9:10], v31, 1
	s_delay_alu instid0(VALU_DEP_3) | instskip(SKIP_1) | instid1(VALU_DEP_4)
	v_and_b32_e32 v31, v7, v33
	v_lshrrev_b64 v[7:8], v30, v[7:8]
	v_and_b32_e32 v32, 0, v32
	s_delay_alu instid0(VALU_DEP_1) | instskip(NEXT) | instid1(VALU_DEP_3)
	v_cmp_eq_u64_e64 s0, v[31:32], v[9:10]
	v_dual_mov_b32 v10, v8 :: v_dual_mov_b32 v9, v7
	s_delay_alu instid0(VALU_DEP_2)
	s_and_saveexec_b32 s5, s0
; %bb.264:
	v_bfe_u32 v9, v7, 20, 1
	s_delay_alu instid0(VALU_DEP_1) | instskip(NEXT) | instid1(VALU_DEP_1)
	v_add_co_u32 v9, s0, v7, v9
	v_add_co_u32 v9, s0, v9, -1
; %bb.265:
	s_or_b32 exec_lo, exec_lo, s5
	v_add_nc_u32_e32 v10, 0xffffff81, v21
	v_lshrrev_b32_e32 v21, 23, v7
	s_delay_alu instid0(VALU_DEP_3) | instskip(SKIP_1) | instid1(VALU_DEP_3)
	v_and_b32_e32 v9, 0xfffff, v9
	s_mov_b32 s0, exec_lo
	v_cndmask_b32_e64 v10, v10, 0xffffff82, vcc_lo
	s_delay_alu instid0(VALU_DEP_2) | instskip(SKIP_1) | instid1(VALU_DEP_3)
	v_add_co_u32 v7, vcc_lo, v9, v7
	v_add_co_ci_u32_e32 v8, vcc_lo, 0, v8, vcc_lo
	v_add3_u32 v10, v30, v10, v21
                                        ; implicit-def: $vgpr9
	s_delay_alu instid0(VALU_DEP_1) | instskip(NEXT) | instid1(VALU_DEP_1)
	v_add_nc_u32_e32 v21, 6, v10
	v_cmpx_ne_u32_e32 0, v21
	s_xor_b32 s0, exec_lo, s0
; %bb.266:
	v_cmp_lt_u64_e32 vcc_lo, 0xffffff, v[7:8]
	v_add_nc_u32_e32 v9, 7, v10
	v_cndmask_b32_e64 v10, 0, 1, vcc_lo
	s_delay_alu instid0(VALU_DEP_2) | instskip(NEXT) | instid1(VALU_DEP_2)
	v_cndmask_b32_e32 v9, v21, v9, vcc_lo
	v_lshrrev_b64 v[7:8], v10, v[7:8]
; %bb.267:
	s_and_not1_saveexec_b32 s0, s0
; %bb.268:
	s_delay_alu instid0(VALU_DEP_1)
	v_bfe_u32 v9, v7, 23, 1
; %bb.269:
	s_or_b32 exec_lo, exec_lo, s0
	s_delay_alu instid0(VALU_DEP_2) | instskip(NEXT) | instid1(VALU_DEP_2)
	v_lshrrev_b64 v[7:8], 20, v[7:8]
	v_cmp_gt_i32_e32 vcc_lo, 16, v9
	v_cmp_ne_u32_e64 s0, 0, v9
                                        ; implicit-def: $vgpr21
	s_delay_alu instid0(VALU_DEP_3) | instskip(NEXT) | instid1(VALU_DEP_1)
	v_dual_cndmask_b32 v8, 0, v8 :: v_dual_cndmask_b32 v7, 7, v7
	v_cmp_ne_u64_e32 vcc_lo, 0, v[7:8]
	s_delay_alu instid0(VALU_DEP_3) | instskip(NEXT) | instid1(SALU_CYCLE_1)
	s_or_b32 s0, s0, vcc_lo
	s_and_saveexec_b32 s5, s0
	s_delay_alu instid0(SALU_CYCLE_1)
	s_xor_b32 s0, exec_lo, s5
; %bb.270:
	v_min_i32_e32 v8, 15, v9
	s_delay_alu instid0(VALU_DEP_1) | instskip(NEXT) | instid1(VALU_DEP_1)
	v_lshl_or_b32 v8, v8, 3, v29
                                        ; implicit-def: $vgpr29
	v_and_or_b32 v21, v7, 7, v8
; %bb.271:
	s_and_not1_saveexec_b32 s0, s0
; %bb.272:
	v_mov_b32_e32 v21, v29
; %bb.273:
	s_or_b32 exec_lo, exec_lo, s0
.LBB3_274:
	s_delay_alu instid0(SALU_CYCLE_1)
	s_or_b32 exec_lo, exec_lo, s4
.LBB3_275:
	s_and_not1_saveexec_b32 s0, s3
	s_delay_alu instid0(SALU_CYCLE_1)
	s_or_b32 exec_lo, exec_lo, s0
                                        ; implicit-def: $vgpr10
                                        ; implicit-def: $vgpr7_vgpr8
.LBB3_276:
	s_and_not1_saveexec_b32 s0, s2
; %bb.277:
	v_cmp_eq_u64_e32 vcc_lo, 0, v[7:8]
	v_or_b32_e32 v9, 0x7f, v10
	s_delay_alu instid0(VALU_DEP_1)
	v_cndmask_b32_e32 v21, v9, v21, vcc_lo
; %bb.278:
	s_or_b32 exec_lo, exec_lo, s0
	v_dual_mul_f32 v7, v14, v16 :: v_dual_mov_b32 v8, 0
	s_mov_b32 s0, 0xc3e00000
	s_delay_alu instid0(VALU_DEP_1) | instid1(SALU_CYCLE_1)
	v_maxmin_f32 v9, v7, s0, 0x43e00000
	s_mov_b32 s0, exec_lo
	s_delay_alu instid0(VALU_DEP_2) | instskip(NEXT) | instid1(VALU_DEP_2)
	v_mov_b32_e32 v31, v8
	v_lshrrev_b32_e32 v10, 24, v9
	v_and_b32_e32 v30, 0x7f800000, v9
	v_and_b32_e32 v7, 0x7fffff, v9
	s_delay_alu instid0(VALU_DEP_3) | instskip(NEXT) | instid1(VALU_DEP_1)
	v_and_b32_e32 v29, 0x80, v10
	v_or_b32_e32 v16, 0x7e, v29
	s_delay_alu instid0(VALU_DEP_4)
	v_cmpx_ne_u64_e32 0x7f800000, v[30:31]
	s_xor_b32 s2, exec_lo, s0
	s_cbranch_execz .LBB3_294
; %bb.279:
	v_dual_mov_b32 v31, v8 :: v_dual_and_b32 v30, 0x7fffffff, v9
	s_mov_b32 s0, exec_lo
	s_delay_alu instid0(VALU_DEP_1)
	v_cmpx_gt_u64_e32 0x43e00001, v[30:31]
	s_xor_b32 s3, exec_lo, s0
	s_cbranch_execz .LBB3_293
; %bb.280:
	v_mov_b32_e32 v16, 0
	s_mov_b32 s4, exec_lo
	v_cmpx_ne_u32_e32 0, v9
	s_cbranch_execz .LBB3_292
; %bb.281:
	v_bfe_u32 v16, v9, 23, 8
	v_or_b32_e32 v31, 0x800000, v7
	s_delay_alu instid0(VALU_DEP_2) | instskip(SKIP_1) | instid1(VALU_DEP_2)
	v_sub_nc_u32_e32 v9, 0x79, v16
	v_cmp_gt_u32_e32 vcc_lo, 0x7a, v16
	v_cndmask_b32_e32 v9, 0, v9, vcc_lo
	v_cmp_eq_u32_e32 vcc_lo, 0, v16
	s_delay_alu instid0(VALU_DEP_2) | instskip(SKIP_1) | instid1(VALU_DEP_2)
	v_cndmask_b32_e64 v30, v9, 0x78, vcc_lo
	v_cndmask_b32_e32 v7, v31, v7, vcc_lo
	v_add_nc_u32_e32 v9, 20, v30
	v_add_nc_u32_e32 v31, 19, v30
	s_delay_alu instid0(VALU_DEP_2) | instskip(NEXT) | instid1(VALU_DEP_1)
	v_lshlrev_b64 v[9:10], v9, -1
	v_not_b32_e32 v33, v9
	s_delay_alu instid0(VALU_DEP_2) | instskip(NEXT) | instid1(VALU_DEP_4)
	v_not_b32_e32 v32, v10
	v_lshlrev_b64 v[9:10], v31, 1
	s_delay_alu instid0(VALU_DEP_3) | instskip(SKIP_1) | instid1(VALU_DEP_4)
	v_and_b32_e32 v31, v7, v33
	v_lshrrev_b64 v[7:8], v30, v[7:8]
	v_and_b32_e32 v32, 0, v32
	s_delay_alu instid0(VALU_DEP_1) | instskip(NEXT) | instid1(VALU_DEP_3)
	v_cmp_eq_u64_e64 s0, v[31:32], v[9:10]
	v_dual_mov_b32 v10, v8 :: v_dual_mov_b32 v9, v7
	s_delay_alu instid0(VALU_DEP_2)
	s_and_saveexec_b32 s5, s0
; %bb.282:
	v_bfe_u32 v9, v7, 20, 1
	s_delay_alu instid0(VALU_DEP_1) | instskip(NEXT) | instid1(VALU_DEP_1)
	v_add_co_u32 v9, s0, v7, v9
	v_add_co_u32 v9, s0, v9, -1
; %bb.283:
	s_or_b32 exec_lo, exec_lo, s5
	v_add_nc_u32_e32 v10, 0xffffff81, v16
	v_lshrrev_b32_e32 v16, 23, v7
	s_delay_alu instid0(VALU_DEP_3) | instskip(SKIP_1) | instid1(VALU_DEP_3)
	v_and_b32_e32 v9, 0xfffff, v9
	s_mov_b32 s0, exec_lo
	v_cndmask_b32_e64 v10, v10, 0xffffff82, vcc_lo
	s_delay_alu instid0(VALU_DEP_2) | instskip(SKIP_1) | instid1(VALU_DEP_3)
	v_add_co_u32 v7, vcc_lo, v9, v7
	v_add_co_ci_u32_e32 v8, vcc_lo, 0, v8, vcc_lo
	v_add3_u32 v10, v30, v10, v16
                                        ; implicit-def: $vgpr9
	s_delay_alu instid0(VALU_DEP_1) | instskip(NEXT) | instid1(VALU_DEP_1)
	v_add_nc_u32_e32 v16, 6, v10
	v_cmpx_ne_u32_e32 0, v16
	s_xor_b32 s0, exec_lo, s0
; %bb.284:
	v_cmp_lt_u64_e32 vcc_lo, 0xffffff, v[7:8]
	v_add_nc_u32_e32 v9, 7, v10
	v_cndmask_b32_e64 v10, 0, 1, vcc_lo
	s_delay_alu instid0(VALU_DEP_2) | instskip(NEXT) | instid1(VALU_DEP_2)
	v_cndmask_b32_e32 v9, v16, v9, vcc_lo
	v_lshrrev_b64 v[7:8], v10, v[7:8]
; %bb.285:
	s_and_not1_saveexec_b32 s0, s0
; %bb.286:
	s_delay_alu instid0(VALU_DEP_1)
	v_bfe_u32 v9, v7, 23, 1
; %bb.287:
	s_or_b32 exec_lo, exec_lo, s0
	s_delay_alu instid0(VALU_DEP_2) | instskip(NEXT) | instid1(VALU_DEP_2)
	v_lshrrev_b64 v[7:8], 20, v[7:8]
	v_cmp_gt_i32_e32 vcc_lo, 16, v9
	v_cmp_ne_u32_e64 s0, 0, v9
                                        ; implicit-def: $vgpr16
	s_delay_alu instid0(VALU_DEP_3) | instskip(NEXT) | instid1(VALU_DEP_1)
	v_dual_cndmask_b32 v8, 0, v8 :: v_dual_cndmask_b32 v7, 7, v7
	v_cmp_ne_u64_e32 vcc_lo, 0, v[7:8]
	s_delay_alu instid0(VALU_DEP_3) | instskip(NEXT) | instid1(SALU_CYCLE_1)
	s_or_b32 s0, s0, vcc_lo
	s_and_saveexec_b32 s5, s0
	s_delay_alu instid0(SALU_CYCLE_1)
	s_xor_b32 s0, exec_lo, s5
; %bb.288:
	v_min_i32_e32 v8, 15, v9
	s_delay_alu instid0(VALU_DEP_1) | instskip(NEXT) | instid1(VALU_DEP_1)
	v_lshl_or_b32 v8, v8, 3, v29
                                        ; implicit-def: $vgpr29
	v_and_or_b32 v16, v7, 7, v8
; %bb.289:
	s_and_not1_saveexec_b32 s0, s0
; %bb.290:
	v_mov_b32_e32 v16, v29
; %bb.291:
	s_or_b32 exec_lo, exec_lo, s0
.LBB3_292:
	s_delay_alu instid0(SALU_CYCLE_1)
	s_or_b32 exec_lo, exec_lo, s4
.LBB3_293:
	s_and_not1_saveexec_b32 s0, s3
	s_delay_alu instid0(SALU_CYCLE_1)
	s_or_b32 exec_lo, exec_lo, s0
                                        ; implicit-def: $vgpr10
                                        ; implicit-def: $vgpr7_vgpr8
.LBB3_294:
	s_and_not1_saveexec_b32 s0, s2
; %bb.295:
	v_cmp_eq_u64_e32 vcc_lo, 0, v[7:8]
	v_or_b32_e32 v9, 0x7f, v10
	s_delay_alu instid0(VALU_DEP_1)
	v_cndmask_b32_e32 v16, v9, v16, vcc_lo
; %bb.296:
	s_or_b32 exec_lo, exec_lo, s0
	v_dual_mul_f32 v7, v14, v13 :: v_dual_mov_b32 v8, 0
	s_mov_b32 s0, 0xc3e00000
	s_delay_alu instid0(VALU_DEP_1) | instid1(SALU_CYCLE_1)
	v_maxmin_f32 v10, v7, s0, 0x43e00000
	s_mov_b32 s0, exec_lo
	s_delay_alu instid0(VALU_DEP_2) | instskip(NEXT) | instid1(VALU_DEP_2)
	v_mov_b32_e32 v30, v8
	v_lshrrev_b32_e32 v14, 24, v10
	v_and_b32_e32 v29, 0x7f800000, v10
	v_and_b32_e32 v7, 0x7fffff, v10
	s_delay_alu instid0(VALU_DEP_3) | instskip(NEXT) | instid1(VALU_DEP_1)
	v_and_b32_e32 v13, 0x80, v14
	v_or_b32_e32 v9, 0x7e, v13
	s_delay_alu instid0(VALU_DEP_4)
	v_cmpx_ne_u64_e32 0x7f800000, v[29:30]
	s_xor_b32 s2, exec_lo, s0
	s_cbranch_execz .LBB3_312
; %bb.297:
	v_dual_mov_b32 v30, v8 :: v_dual_and_b32 v29, 0x7fffffff, v10
	s_mov_b32 s0, exec_lo
	s_delay_alu instid0(VALU_DEP_1)
	v_cmpx_gt_u64_e32 0x43e00001, v[29:30]
	s_xor_b32 s3, exec_lo, s0
	s_cbranch_execz .LBB3_311
; %bb.298:
	v_mov_b32_e32 v9, 0
	s_mov_b32 s4, exec_lo
	v_cmpx_ne_u32_e32 0, v10
	s_cbranch_execz .LBB3_310
; %bb.299:
	v_bfe_u32 v14, v10, 23, 8
	v_or_b32_e32 v30, 0x800000, v7
	s_delay_alu instid0(VALU_DEP_2) | instskip(SKIP_1) | instid1(VALU_DEP_2)
	v_sub_nc_u32_e32 v9, 0x79, v14
	v_cmp_gt_u32_e32 vcc_lo, 0x7a, v14
	v_cndmask_b32_e32 v9, 0, v9, vcc_lo
	v_cmp_eq_u32_e32 vcc_lo, 0, v14
	s_delay_alu instid0(VALU_DEP_2) | instskip(NEXT) | instid1(VALU_DEP_1)
	v_cndmask_b32_e64 v29, v9, 0x78, vcc_lo
	v_dual_cndmask_b32 v7, v30, v7 :: v_dual_add_nc_u32 v30, 19, v29
	v_add_nc_u32_e32 v9, 20, v29
	s_delay_alu instid0(VALU_DEP_1) | instskip(NEXT) | instid1(VALU_DEP_1)
	v_lshlrev_b64 v[9:10], v9, -1
	v_not_b32_e32 v32, v9
	s_delay_alu instid0(VALU_DEP_2) | instskip(SKIP_1) | instid1(VALU_DEP_3)
	v_not_b32_e32 v31, v10
	v_lshlrev_b64 v[9:10], v30, 1
	v_and_b32_e32 v30, v7, v32
	v_lshrrev_b64 v[7:8], v29, v[7:8]
	s_delay_alu instid0(VALU_DEP_4) | instskip(NEXT) | instid1(VALU_DEP_1)
	v_and_b32_e32 v31, 0, v31
	v_cmp_eq_u64_e64 s0, v[30:31], v[9:10]
	s_delay_alu instid0(VALU_DEP_3) | instskip(NEXT) | instid1(VALU_DEP_2)
	v_dual_mov_b32 v10, v8 :: v_dual_mov_b32 v9, v7
	s_and_saveexec_b32 s5, s0
; %bb.300:
	v_bfe_u32 v9, v7, 20, 1
	s_delay_alu instid0(VALU_DEP_1) | instskip(NEXT) | instid1(VALU_DEP_1)
	v_add_co_u32 v9, s0, v7, v9
	v_add_co_u32 v9, s0, v9, -1
; %bb.301:
	s_or_b32 exec_lo, exec_lo, s5
	v_add_nc_u32_e32 v10, 0xffffff81, v14
	v_lshrrev_b32_e32 v14, 23, v7
	s_mov_b32 s0, exec_lo
	s_delay_alu instid0(VALU_DEP_2) | instskip(NEXT) | instid1(VALU_DEP_1)
	v_cndmask_b32_e64 v10, v10, 0xffffff82, vcc_lo
	v_add3_u32 v14, v29, v10, v14
	v_and_b32_e32 v10, 0xfffff, v9
	s_delay_alu instid0(VALU_DEP_2) | instskip(NEXT) | instid1(VALU_DEP_2)
	v_add_nc_u32_e32 v9, 6, v14
	v_add_co_u32 v7, vcc_lo, v10, v7
	v_add_co_ci_u32_e32 v8, vcc_lo, 0, v8, vcc_lo
                                        ; implicit-def: $vgpr10
	s_delay_alu instid0(VALU_DEP_3)
	v_cmpx_ne_u32_e32 0, v9
	s_xor_b32 s0, exec_lo, s0
; %bb.302:
	s_delay_alu instid0(VALU_DEP_2) | instskip(SKIP_1) | instid1(VALU_DEP_1)
	v_cmp_lt_u64_e32 vcc_lo, 0xffffff, v[7:8]
	v_add_nc_u32_e32 v10, 7, v14
	v_cndmask_b32_e32 v10, v9, v10, vcc_lo
	v_cndmask_b32_e64 v9, 0, 1, vcc_lo
	s_delay_alu instid0(VALU_DEP_1)
	v_lshrrev_b64 v[7:8], v9, v[7:8]
; %bb.303:
	s_and_not1_saveexec_b32 s0, s0
; %bb.304:
	s_delay_alu instid0(VALU_DEP_1)
	v_bfe_u32 v10, v7, 23, 1
; %bb.305:
	s_or_b32 exec_lo, exec_lo, s0
	s_delay_alu instid0(VALU_DEP_2) | instskip(NEXT) | instid1(VALU_DEP_2)
	v_lshrrev_b64 v[7:8], 20, v[7:8]
	v_cmp_gt_i32_e32 vcc_lo, 16, v10
	v_cmp_ne_u32_e64 s0, 0, v10
                                        ; implicit-def: $vgpr9
	s_delay_alu instid0(VALU_DEP_3) | instskip(NEXT) | instid1(VALU_DEP_1)
	v_dual_cndmask_b32 v8, 0, v8 :: v_dual_cndmask_b32 v7, 7, v7
	v_cmp_ne_u64_e32 vcc_lo, 0, v[7:8]
	s_delay_alu instid0(VALU_DEP_3) | instskip(NEXT) | instid1(SALU_CYCLE_1)
	s_or_b32 s0, s0, vcc_lo
	s_and_saveexec_b32 s5, s0
	s_delay_alu instid0(SALU_CYCLE_1)
	s_xor_b32 s0, exec_lo, s5
; %bb.306:
	v_min_i32_e32 v8, 15, v10
	s_delay_alu instid0(VALU_DEP_1) | instskip(NEXT) | instid1(VALU_DEP_1)
	v_lshl_or_b32 v8, v8, 3, v13
                                        ; implicit-def: $vgpr13
	v_and_or_b32 v9, v7, 7, v8
; %bb.307:
	s_and_not1_saveexec_b32 s0, s0
; %bb.308:
	v_mov_b32_e32 v9, v13
; %bb.309:
	s_or_b32 exec_lo, exec_lo, s0
.LBB3_310:
	s_delay_alu instid0(SALU_CYCLE_1)
	s_or_b32 exec_lo, exec_lo, s4
.LBB3_311:
	s_and_not1_saveexec_b32 s0, s3
	s_delay_alu instid0(SALU_CYCLE_1)
	s_or_b32 exec_lo, exec_lo, s0
                                        ; implicit-def: $vgpr14
                                        ; implicit-def: $vgpr7_vgpr8
.LBB3_312:
	s_and_not1_saveexec_b32 s0, s2
; %bb.313:
	v_cmp_eq_u64_e32 vcc_lo, 0, v[7:8]
	v_or_b32_e32 v10, 0x7f, v14
	s_delay_alu instid0(VALU_DEP_1)
	v_cndmask_b32_e32 v9, v10, v9, vcc_lo
; %bb.314:
	s_or_b32 exec_lo, exec_lo, s0
	v_mad_i64_i32 v[7:8], null, 0x240, s8, v[3:4]
	v_lshlrev_b64 v[5:6], 3, v[5:6]
	v_lshlrev_b16 v10, 8, v21
	v_and_b32_e32 v13, 0xff, v22
	v_lshlrev_b16 v9, 8, v9
	v_and_b32_e32 v14, 0xff, v16
	;; [unrolled: 2-line block ×3, first 2 shown]
	v_add_co_u32 v3, vcc_lo, v7, v5
	v_add_co_ci_u32_e32 v4, vcc_lo, v8, v6, vcc_lo
	v_or_b32_e32 v5, v13, v10
	v_or_b32_e32 v6, v14, v9
	;; [unrolled: 1-line block ×3, first 2 shown]
	v_lshlrev_b16 v8, 8, v23
	v_and_b32_e32 v9, 0xff, v24
	v_lshlrev_b16 v10, 8, v20
	v_and_b32_e32 v13, 0xff, v19
	;; [unrolled: 2-line block ×5, first 2 shown]
	v_or_b32_e32 v8, v9, v8
	v_or_b32_e32 v9, v13, v10
	v_or_b32_e32 v10, v16, v14
	v_or_b32_e32 v12, v12, v15
	v_or_b32_e32 v13, v17, v18
	v_and_b32_e32 v5, 0xffff, v5
	v_lshlrev_b32_e32 v6, 16, v6
	v_and_b32_e32 v7, 0xffff, v7
	v_lshlrev_b32_e32 v14, 16, v8
	;; [unrolled: 2-line block ×4, first 2 shown]
	v_add_co_u32 v1, vcc_lo, v1, v37
	v_add_co_ci_u32_e32 v2, vcc_lo, 0, v2, vcc_lo
	v_and_b32_e32 v0, 3, v0
	v_or_b32_e32 v8, v5, v6
	v_or_b32_e32 v7, v7, v14
	v_or_b32_e32 v6, v9, v10
	v_or_b32_e32 v5, v12, v13
	s_mov_b32 s0, exec_lo
	global_store_b128 v[1:2], v[5:8], off
	v_cmpx_eq_u32_e32 0, v0
	s_cbranch_execz .LBB3_316
; %bb.315:
	v_add_f32_e32 v0, 0x42fe0000, v11
	v_lshrrev_b32_e32 v1, 2, v38
	s_delay_alu instid0(VALU_DEP_2) | instskip(NEXT) | instid1(VALU_DEP_1)
	v_minmax_f32 v0, v0, 0x437f0000, 0
	v_cvt_i32_f32_e32 v2, v0
	s_delay_alu instid0(VALU_DEP_3)
	v_add_co_u32 v0, vcc_lo, v3, v1
	v_add_co_ci_u32_e32 v1, vcc_lo, 0, v4, vcc_lo
	global_store_b8 v[0:1], v2, off
.LBB3_316:
	s_or_b32 exec_lo, exec_lo, s0
	s_delay_alu instid0(SALU_CYCLE_1)
	s_mov_b32 s0, exec_lo
	v_cmpx_eq_u32_e32 0, v38
	s_cbranch_execz .LBB3_318
; %bb.317:
	v_mov_b32_e32 v0, 0
	global_store_b8 v[3:4], v0, off offset:7
.LBB3_318:
	s_or_b32 exec_lo, exec_lo, s0
                                        ; implicit-def: $vgpr37
                                        ; implicit-def: $vgpr34
                                        ; implicit-def: $vgpr35
                                        ; implicit-def: $vgpr36
                                        ; implicit-def: $vgpr39
                                        ; implicit-def: $vgpr40
                                        ; implicit-def: $vgpr41
                                        ; implicit-def: $vgpr7
                                        ; implicit-def: $vgpr43
                                        ; implicit-def: $vgpr8
                                        ; implicit-def: $vgpr9
                                        ; implicit-def: $vgpr10
                                        ; implicit-def: $vgpr11
                                        ; implicit-def: $vgpr12
                                        ; implicit-def: $vgpr14
                                        ; implicit-def: $vgpr15
                                        ; implicit-def: $vgpr44
                                        ; implicit-def: $vgpr1_vgpr2
.LBB3_319:
	s_and_not1_saveexec_b32 s0, s1
	s_cbranch_execz .LBB3_321
; %bb.320:
	v_lshlrev_b32_e32 v0, 1, v37
	v_perm_b32 v3, v43, v7, 0x5040100
	v_perm_b32 v7, v44, v15, 0x5040100
	;; [unrolled: 1-line block ×4, first 2 shown]
	v_add_co_u32 v16, vcc_lo, v1, v0
	v_add_co_ci_u32_e32 v17, vcc_lo, 0, v2, vcc_lo
	v_perm_b32 v2, v41, v40, 0x5040100
	v_perm_b32 v1, v39, v36, 0x5040100
	;; [unrolled: 1-line block ×4, first 2 shown]
	s_clause 0x1
	global_store_b128 v[16:17], v[0:3], off offset:-448
	global_store_b128 v[16:17], v[4:7], off offset:-432
.LBB3_321:
	s_or_b32 exec_lo, exec_lo, s7
                                        ; implicit-def: $vgpr1_vgpr2_vgpr3_vgpr4_vgpr5_vgpr6_vgpr7_vgpr8_vgpr9_vgpr10_vgpr11_vgpr12_vgpr13_vgpr14_vgpr15_vgpr16
                                        ; implicit-def: $vgpr33
                                        ; implicit-def: $vgpr35
                                        ; implicit-def: $vgpr37
	s_and_not1_saveexec_b32 s0, s6
	s_cbranch_execnz .LBB3_14
	s_branch .LBB3_15
	.section	.rodata,"a",@progbits
	.p2align	6, 0x0
	.amdhsa_kernel _ZN4vllm21deepseek_v4_fused_ops47fusedDeepseekV4QNormRopeKVRopeQuantInsertKernelIN3c104HalfELi64EEEvPKT_PS4_S6_PhPKlSA_PKffiiiii
		.amdhsa_group_segment_fixed_size 0
		.amdhsa_private_segment_fixed_size 0
		.amdhsa_kernarg_size 336
		.amdhsa_user_sgpr_count 15
		.amdhsa_user_sgpr_dispatch_ptr 0
		.amdhsa_user_sgpr_queue_ptr 0
		.amdhsa_user_sgpr_kernarg_segment_ptr 1
		.amdhsa_user_sgpr_dispatch_id 0
		.amdhsa_user_sgpr_private_segment_size 0
		.amdhsa_wavefront_size32 1
		.amdhsa_uses_dynamic_stack 0
		.amdhsa_enable_private_segment 0
		.amdhsa_system_sgpr_workgroup_id_x 1
		.amdhsa_system_sgpr_workgroup_id_y 0
		.amdhsa_system_sgpr_workgroup_id_z 0
		.amdhsa_system_sgpr_workgroup_info 0
		.amdhsa_system_vgpr_workitem_id 0
		.amdhsa_next_free_vgpr 49
		.amdhsa_next_free_sgpr 22
		.amdhsa_reserve_vcc 1
		.amdhsa_float_round_mode_32 0
		.amdhsa_float_round_mode_16_64 0
		.amdhsa_float_denorm_mode_32 3
		.amdhsa_float_denorm_mode_16_64 3
		.amdhsa_dx10_clamp 1
		.amdhsa_ieee_mode 1
		.amdhsa_fp16_overflow 0
		.amdhsa_workgroup_processor_mode 1
		.amdhsa_memory_ordered 1
		.amdhsa_forward_progress 0
		.amdhsa_shared_vgpr_count 0
		.amdhsa_exception_fp_ieee_invalid_op 0
		.amdhsa_exception_fp_denorm_src 0
		.amdhsa_exception_fp_ieee_div_zero 0
		.amdhsa_exception_fp_ieee_overflow 0
		.amdhsa_exception_fp_ieee_underflow 0
		.amdhsa_exception_fp_ieee_inexact 0
		.amdhsa_exception_int_div_zero 0
	.end_amdhsa_kernel
	.section	.text._ZN4vllm21deepseek_v4_fused_ops47fusedDeepseekV4QNormRopeKVRopeQuantInsertKernelIN3c104HalfELi64EEEvPKT_PS4_S6_PhPKlSA_PKffiiiii,"axG",@progbits,_ZN4vllm21deepseek_v4_fused_ops47fusedDeepseekV4QNormRopeKVRopeQuantInsertKernelIN3c104HalfELi64EEEvPKT_PS4_S6_PhPKlSA_PKffiiiii,comdat
.Lfunc_end3:
	.size	_ZN4vllm21deepseek_v4_fused_ops47fusedDeepseekV4QNormRopeKVRopeQuantInsertKernelIN3c104HalfELi64EEEvPKT_PS4_S6_PhPKlSA_PKffiiiii, .Lfunc_end3-_ZN4vllm21deepseek_v4_fused_ops47fusedDeepseekV4QNormRopeKVRopeQuantInsertKernelIN3c104HalfELi64EEEvPKT_PS4_S6_PhPKlSA_PKffiiiii
                                        ; -- End function
	.section	.AMDGPU.csdata,"",@progbits
; Kernel info:
; codeLenInByte = 13992
; NumSgprs: 24
; NumVgprs: 49
; ScratchSize: 0
; MemoryBound: 1
; FloatMode: 240
; IeeeMode: 1
; LDSByteSize: 0 bytes/workgroup (compile time only)
; SGPRBlocks: 2
; VGPRBlocks: 6
; NumSGPRsForWavesPerEU: 24
; NumVGPRsForWavesPerEU: 49
; Occupancy: 16
; WaveLimiterHint : 1
; COMPUTE_PGM_RSRC2:SCRATCH_EN: 0
; COMPUTE_PGM_RSRC2:USER_SGPR: 15
; COMPUTE_PGM_RSRC2:TRAP_HANDLER: 0
; COMPUTE_PGM_RSRC2:TGID_X_EN: 1
; COMPUTE_PGM_RSRC2:TGID_Y_EN: 0
; COMPUTE_PGM_RSRC2:TGID_Z_EN: 0
; COMPUTE_PGM_RSRC2:TIDIG_COMP_CNT: 0
	.section	.text._ZN4vllm21deepseek_v4_fused_ops47fusedDeepseekV4QNormRopeKVRopeQuantInsertKernelIN3c104HalfELi128EEEvPKT_PS4_S6_PhPKlSA_PKffiiiii,"axG",@progbits,_ZN4vllm21deepseek_v4_fused_ops47fusedDeepseekV4QNormRopeKVRopeQuantInsertKernelIN3c104HalfELi128EEEvPKT_PS4_S6_PhPKlSA_PKffiiiii,comdat
	.protected	_ZN4vllm21deepseek_v4_fused_ops47fusedDeepseekV4QNormRopeKVRopeQuantInsertKernelIN3c104HalfELi128EEEvPKT_PS4_S6_PhPKlSA_PKffiiiii ; -- Begin function _ZN4vllm21deepseek_v4_fused_ops47fusedDeepseekV4QNormRopeKVRopeQuantInsertKernelIN3c104HalfELi128EEEvPKT_PS4_S6_PhPKlSA_PKffiiiii
	.globl	_ZN4vllm21deepseek_v4_fused_ops47fusedDeepseekV4QNormRopeKVRopeQuantInsertKernelIN3c104HalfELi128EEEvPKT_PS4_S6_PhPKlSA_PKffiiiii
	.p2align	8
	.type	_ZN4vllm21deepseek_v4_fused_ops47fusedDeepseekV4QNormRopeKVRopeQuantInsertKernelIN3c104HalfELi128EEEvPKT_PS4_S6_PhPKlSA_PKffiiiii,@function
_ZN4vllm21deepseek_v4_fused_ops47fusedDeepseekV4QNormRopeKVRopeQuantInsertKernelIN3c104HalfELi128EEEvPKT_PS4_S6_PhPKlSA_PKffiiiii: ; @_ZN4vllm21deepseek_v4_fused_ops47fusedDeepseekV4QNormRopeKVRopeQuantInsertKernelIN3c104HalfELi128EEEvPKT_PS4_S6_PhPKlSA_PKffiiiii
; %bb.0:
	s_clause 0x1
	s_load_b32 s2, s[0:1], 0x5c
	s_load_b128 s[8:11], s[0:1], 0x38
	v_lshrrev_b32_e32 v3, 5, v0
	s_waitcnt lgkmcnt(0)
	s_bfe_u32 s2, s2, 0xb0005
	s_delay_alu instid0(VALU_DEP_1) | instid1(SALU_CYCLE_1)
	v_mad_u64_u32 v[1:2], null, s15, s2, v[3:4]
	s_mov_b32 s2, exec_lo
	s_delay_alu instid0(VALU_DEP_1) | instskip(NEXT) | instid1(VALU_DEP_1)
	v_mul_hi_i32 v2, 0xfe03f81, v1
	v_lshrrev_b32_e32 v3, 31, v2
	v_ashrrev_i32_e32 v2, 3, v2
	s_delay_alu instid0(VALU_DEP_1) | instskip(NEXT) | instid1(VALU_DEP_1)
	v_add_nc_u32_e32 v33, v2, v3
	v_cmpx_gt_i32_e64 s9, v33
	s_cbranch_execz .LBB4_18
; %bb.1:
	s_load_b64 s[14:15], s[0:1], 0x48
	v_lshl_add_u32 v2, v33, 7, v33
	v_cmp_gt_i32_e64 s3, s10, v33
	s_delay_alu instid0(VALU_DEP_2) | instskip(NEXT) | instid1(VALU_DEP_1)
	v_sub_nc_u32_e32 v35, v1, v2
	v_cmp_ne_u32_e64 s2, 0x80, v35
	v_cmp_eq_u32_e32 vcc_lo, 0x80, v35
	s_delay_alu instid0(VALU_DEP_2) | instskip(NEXT) | instid1(SALU_CYCLE_1)
	s_or_b32 s3, s2, s3
	s_and_b32 exec_lo, exec_lo, s3
	s_cbranch_execz .LBB4_18
; %bb.2:
	s_clause 0x2
	s_load_b64 s[12:13], s[0:1], 0x8
	s_load_b128 s[4:7], s[0:1], 0x20
	s_load_b64 s[16:17], s[0:1], 0x30
	v_and_b32_e32 v38, 31, v0
	v_cmp_gt_i32_e64 s3, s11, v35
	v_ashrrev_i32_e32 v34, 31, v33
	s_xor_b32 s9, s2, -1
                                        ; implicit-def: $vgpr7
                                        ; implicit-def: $vgpr15
	s_delay_alu instid0(VALU_DEP_3) | instskip(NEXT) | instid1(VALU_DEP_3)
	v_lshlrev_b32_e32 v37, 4, v38
	s_or_b32 s9, s9, s3
	s_delay_alu instid0(SALU_CYCLE_1)
	s_and_saveexec_b32 s10, s9
	s_cbranch_execz .LBB4_8
; %bb.3:
                                        ; implicit-def: $vgpr1_vgpr2
	s_and_saveexec_b32 s3, vcc_lo
	s_delay_alu instid0(SALU_CYCLE_1)
	s_xor_b32 s18, exec_lo, s3
	s_cbranch_execz .LBB4_5
; %bb.4:
	s_load_b64 s[20:21], s[0:1], 0x10
	v_lshlrev_b64 v[1:2], 10, v[33:34]
	v_lshlrev_b32_e32 v3, 1, v37
	s_waitcnt lgkmcnt(0)
	s_delay_alu instid0(VALU_DEP_2) | instskip(NEXT) | instid1(VALU_DEP_1)
	v_add_co_u32 v1, s3, s20, v1
	v_add_co_ci_u32_e64 v2, s3, s21, v2, s3
	s_delay_alu instid0(VALU_DEP_2) | instskip(NEXT) | instid1(VALU_DEP_1)
	v_add_co_u32 v1, s3, v1, v3
	v_add_co_ci_u32_e64 v2, s3, 0, v2, s3
.LBB4_5:
	s_and_not1_saveexec_b32 s18, s18
	s_cbranch_execz .LBB4_7
; %bb.6:
	v_ashrrev_i32_e32 v36, 31, v35
	s_load_b64 s[20:21], s[0:1], 0x0
	s_delay_alu instid0(VALU_DEP_1) | instskip(NEXT) | instid1(VALU_DEP_1)
	v_mad_i64_i32 v[1:2], null, v33, s11, v[35:36]
	v_lshlrev_b64 v[1:2], 10, v[1:2]
	s_delay_alu instid0(VALU_DEP_1) | instskip(SKIP_1) | instid1(VALU_DEP_1)
	v_lshl_or_b32 v1, v37, 1, v1
	s_waitcnt lgkmcnt(0)
	v_add_co_u32 v1, s3, s20, v1
	s_delay_alu instid0(VALU_DEP_1)
	v_add_co_ci_u32_e64 v2, s3, s21, v2, s3
.LBB4_7:
	s_or_b32 exec_lo, exec_lo, s18
	s_clause 0x1
	global_load_b128 v[12:15], v[1:2], off offset:16
	global_load_b128 v[4:7], v[1:2], off
.LBB4_8:
	s_or_b32 exec_lo, exec_lo, s10
	s_load_b64 s[10:11], s[0:1], 0x18
	s_and_saveexec_b32 s0, s9
	s_delay_alu instid0(SALU_CYCLE_1)
	s_xor_b32 s9, exec_lo, s0
	s_cbranch_execz .LBB4_16
; %bb.9:
	s_waitcnt vmcnt(0)
	v_lshrrev_b32_e32 v8, 16, v5
	v_lshrrev_b32_e32 v9, 16, v6
	;; [unrolled: 1-line block ×3, first 2 shown]
	v_cvt_f32_f16_e32 v1, v4
	v_cvt_f32_f16_e32 v3, v5
	;; [unrolled: 1-line block ×3, first 2 shown]
	v_lshrrev_b32_e32 v8, 16, v7
	v_cvt_f32_f16_e32 v5, v6
	v_cvt_f32_f16_e32 v6, v9
	v_lshrrev_b32_e32 v10, 16, v12
	v_cvt_f32_f16_e32 v9, v12
	v_lshrrev_b32_e32 v12, 16, v13
	v_lshrrev_b32_e32 v16, 16, v14
	;; [unrolled: 1-line block ×3, first 2 shown]
	v_cvt_f32_f16_e32 v2, v2
	v_cvt_f32_f16_e32 v7, v7
	;; [unrolled: 1-line block ×10, first 2 shown]
	s_and_saveexec_b32 s1, s2
	s_cbranch_execz .LBB4_11
; %bb.10:
	v_mbcnt_lo_u32_b32 v18, -1, 0
	s_delay_alu instid0(VALU_DEP_1) | instskip(SKIP_1) | instid1(VALU_DEP_2)
	v_xor_b32_e32 v19, 16, v18
	v_xor_b32_e32 v20, 8, v18
	v_cmp_gt_i32_e64 s0, 32, v19
	s_delay_alu instid0(VALU_DEP_1) | instskip(NEXT) | instid1(VALU_DEP_3)
	v_cndmask_b32_e64 v19, v18, v19, s0
	v_cmp_gt_i32_e64 s0, 32, v20
	s_delay_alu instid0(VALU_DEP_2) | instskip(NEXT) | instid1(VALU_DEP_2)
	v_lshlrev_b32_e32 v19, 2, v19
	v_cndmask_b32_e64 v20, v18, v20, s0
	s_delay_alu instid0(VALU_DEP_1) | instskip(NEXT) | instid1(VALU_DEP_1)
	v_dual_mul_f32 v17, v2, v2 :: v_dual_lshlrev_b32 v20, 2, v20
	v_fmac_f32_e32 v17, v1, v1
	s_delay_alu instid0(VALU_DEP_1) | instskip(NEXT) | instid1(VALU_DEP_1)
	v_fmac_f32_e32 v17, v3, v3
	v_fmac_f32_e32 v17, v4, v4
	s_delay_alu instid0(VALU_DEP_1) | instskip(NEXT) | instid1(VALU_DEP_1)
	v_fmac_f32_e32 v17, v5, v5
	;; [unrolled: 3-line block ×7, first 2 shown]
	v_fmac_f32_e32 v17, v16, v16
	ds_bpermute_b32 v19, v19, v17
	s_waitcnt lgkmcnt(0)
	v_add_f32_e32 v17, v17, v19
	ds_bpermute_b32 v19, v20, v17
	v_xor_b32_e32 v20, 4, v18
	s_delay_alu instid0(VALU_DEP_1) | instskip(NEXT) | instid1(VALU_DEP_1)
	v_cmp_gt_i32_e64 s0, 32, v20
	v_cndmask_b32_e64 v20, v18, v20, s0
	s_waitcnt lgkmcnt(0)
	s_delay_alu instid0(VALU_DEP_1) | instskip(SKIP_2) | instid1(VALU_DEP_1)
	v_dual_add_f32 v17, v17, v19 :: v_dual_lshlrev_b32 v20, 2, v20
	ds_bpermute_b32 v19, v20, v17
	v_xor_b32_e32 v20, 2, v18
	v_cmp_gt_i32_e64 s0, 32, v20
	s_delay_alu instid0(VALU_DEP_1) | instskip(SKIP_1) | instid1(VALU_DEP_1)
	v_cndmask_b32_e64 v20, v18, v20, s0
	s_waitcnt lgkmcnt(0)
	v_dual_add_f32 v17, v17, v19 :: v_dual_lshlrev_b32 v20, 2, v20
	ds_bpermute_b32 v19, v20, v17
	v_xor_b32_e32 v20, 1, v18
	s_delay_alu instid0(VALU_DEP_1) | instskip(NEXT) | instid1(VALU_DEP_1)
	v_cmp_gt_i32_e64 s0, 32, v20
	v_cndmask_b32_e64 v18, v18, v20, s0
	s_waitcnt lgkmcnt(0)
	s_delay_alu instid0(VALU_DEP_1) | instskip(SKIP_4) | instid1(VALU_DEP_1)
	v_dual_add_f32 v17, v17, v19 :: v_dual_lshlrev_b32 v18, 2, v18
	v_mov_b32_e32 v19, s8
	ds_bpermute_b32 v18, v18, v17
	s_waitcnt lgkmcnt(0)
	v_add_f32_e32 v17, v17, v18
	v_fmamk_f32 v17, v17, 0x3b000000, v19
	s_delay_alu instid0(VALU_DEP_1) | instskip(SKIP_1) | instid1(VALU_DEP_1)
	v_mul_f32_e32 v18, 0x4b800000, v17
	v_cmp_gt_f32_e64 s0, 0x800000, v17
	v_cndmask_b32_e64 v17, v17, v18, s0
	s_delay_alu instid0(VALU_DEP_1) | instskip(SKIP_2) | instid1(VALU_DEP_1)
	v_rsq_f32_e32 v17, v17
	s_waitcnt_depctr 0xfff
	v_mul_f32_e32 v18, 0x45800000, v17
	v_cndmask_b32_e64 v17, v17, v18, s0
	s_delay_alu instid0(VALU_DEP_1)
	v_mul_f32_e32 v1, v17, v1
	v_mul_f32_e32 v2, v17, v2
	v_mul_f32_e32 v3, v17, v3
	v_mul_f32_e32 v4, v17, v4
	v_mul_f32_e32 v5, v17, v5
	v_mul_f32_e32 v6, v17, v6
	v_mul_f32_e32 v7, v17, v7
	v_mul_f32_e32 v8, v17, v8
	v_mul_f32_e32 v9, v17, v9
	v_mul_f32_e32 v10, v17, v10
	v_mul_f32_e32 v11, v17, v11
	v_mul_f32_e32 v12, v17, v12
	v_mul_f32_e32 v13, v17, v13
	v_mul_f32_e32 v14, v17, v14
	v_mul_f32_e32 v15, v17, v15
	v_mul_f32_e32 v16, v17, v16
.LBB4_11:
	s_or_b32 exec_lo, exec_lo, s1
	v_cmp_gt_u32_e64 s0, 28, v38
	s_mov_b32 s2, exec_lo
	v_cmpx_lt_u32_e32 27, v38
	s_cbranch_execz .LBB4_19
; %bb.12:
	v_lshlrev_b64 v[17:18], 3, v[33:34]
	v_dual_mov_b32 v20, 0 :: v_dual_add_nc_u32 v19, 0xfffffe40, v37
	s_delay_alu instid0(VALU_DEP_1) | instskip(SKIP_1) | instid1(VALU_DEP_3)
	v_lshrrev_b32_e32 v19, 1, v19
	s_waitcnt lgkmcnt(0)
	v_add_co_u32 v17, s1, s6, v17
	s_delay_alu instid0(VALU_DEP_1) | instskip(NEXT) | instid1(VALU_DEP_3)
	v_add_co_ci_u32_e64 v18, s1, s7, v18, s1
	v_lshlrev_b64 v[19:20], 2, v[19:20]
	global_load_b64 v[17:18], v[17:18], off
	s_waitcnt vmcnt(0)
	v_lshlrev_b64 v[17:18], 8, v[17:18]
	s_delay_alu instid0(VALU_DEP_1) | instskip(NEXT) | instid1(VALU_DEP_1)
	v_add_co_u32 v17, s1, s16, v17
	v_add_co_ci_u32_e64 v18, s1, s17, v18, s1
	s_delay_alu instid0(VALU_DEP_2) | instskip(NEXT) | instid1(VALU_DEP_1)
	v_add_co_u32 v17, s1, v17, v19
	v_add_co_ci_u32_e64 v18, s1, v18, v20, s1
	s_clause 0x3
	global_load_b128 v[20:23], v[17:18], off offset:128
	global_load_b128 v[28:31], v[17:18], off offset:144
	global_load_b128 v[39:42], v[17:18], off
	global_load_b128 v[43:46], v[17:18], off offset:16
	s_waitcnt vmcnt(3)
	v_mul_f32_e32 v17, v2, v20
	v_dual_mul_f32 v18, v1, v20 :: v_dual_mul_f32 v19, v4, v21
	v_dual_mul_f32 v20, v3, v21 :: v_dual_mul_f32 v21, v6, v22
	v_mul_f32_e32 v24, v7, v23
	v_dual_mul_f32 v22, v5, v22 :: v_dual_mul_f32 v25, v8, v23
	s_waitcnt vmcnt(2)
	v_dual_mul_f32 v27, v10, v28 :: v_dual_mul_f32 v36, v12, v29
	v_mul_f32_e32 v26, v9, v28
	v_dual_mul_f32 v28, v11, v29 :: v_dual_mul_f32 v47, v16, v31
	v_mul_f32_e32 v29, v14, v30
	v_mul_f32_e32 v30, v13, v30
	;; [unrolled: 1-line block ×3, first 2 shown]
	s_waitcnt vmcnt(1)
	v_fma_f32 v17, v1, v39, -v17
	v_fmac_f32_e32 v18, v2, v39
	v_fma_f32 v19, v3, v40, -v19
	v_fmac_f32_e32 v20, v4, v40
	;; [unrolled: 2-line block ×4, first 2 shown]
	s_waitcnt vmcnt(0)
	v_fma_f32 v25, v9, v43, -v27
	v_fmac_f32_e32 v26, v10, v43
	v_fma_f32 v27, v11, v44, -v36
	v_fmac_f32_e32 v28, v12, v44
	v_fma_f32 v29, v13, v45, -v29
	v_fmac_f32_e32 v30, v14, v45
	v_fma_f32 v31, v15, v46, -v47
	v_fmac_f32_e32 v32, v16, v46
	v_dual_mov_b32 v1, v17 :: v_dual_mov_b32 v2, v18
	v_dual_mov_b32 v3, v19 :: v_dual_mov_b32 v4, v20
	;; [unrolled: 1-line block ×8, first 2 shown]
	s_or_b32 exec_lo, exec_lo, s2
	s_and_saveexec_b32 s1, vcc_lo
	s_delay_alu instid0(SALU_CYCLE_1)
	s_xor_b32 s6, exec_lo, s1
	s_cbranch_execnz .LBB4_20
.LBB4_13:
	s_and_not1_saveexec_b32 s0, s6
	s_cbranch_execz .LBB4_15
.LBB4_14:
	v_cvt_f16_f32_e32 v17, v1
	v_ashrrev_i32_e32 v36, 31, v35
	v_lshlrev_b64 v[0:1], 17, v[33:34]
	s_waitcnt lgkmcnt(0)
	v_cvt_f16_f32_e32 v18, v2
	v_cvt_f16_f32_e32 v19, v3
	;; [unrolled: 1-line block ×3, first 2 shown]
	v_lshlrev_b64 v[2:3], 10, v[35:36]
	v_lshlrev_b32_e32 v8, 1, v37
	v_add_co_u32 v0, vcc_lo, s12, v0
	v_add_co_ci_u32_e32 v1, vcc_lo, s13, v1, vcc_lo
	v_cvt_f16_f32_e32 v4, v4
	s_delay_alu instid0(VALU_DEP_3)
	v_add_co_u32 v0, vcc_lo, v0, v2
	v_cvt_f16_f32_e32 v5, v5
	v_cvt_f16_f32_e32 v6, v6
	;; [unrolled: 1-line block ×3, first 2 shown]
	v_add_co_ci_u32_e32 v1, vcc_lo, v1, v3, vcc_lo
	v_cvt_f16_f32_e32 v21, v9
	v_cvt_f16_f32_e32 v10, v10
	;; [unrolled: 1-line block ×8, first 2 shown]
	v_add_co_u32 v8, vcc_lo, v0, v8
	v_add_co_ci_u32_e32 v9, vcc_lo, 0, v1, vcc_lo
	v_pack_b32_f16 v3, v7, v20
	v_pack_b32_f16 v2, v5, v6
	;; [unrolled: 1-line block ×8, first 2 shown]
	s_clause 0x1
	global_store_b128 v[8:9], v[0:3], off
	global_store_b128 v[8:9], v[4:7], off offset:16
.LBB4_15:
	s_or_b32 exec_lo, exec_lo, s0
                                        ; implicit-def: $vgpr33
                                        ; implicit-def: $vgpr35
                                        ; implicit-def: $vgpr37
.LBB4_16:
	s_and_not1_saveexec_b32 s0, s9
	s_cbranch_execz .LBB4_18
; %bb.17:
	v_ashrrev_i32_e32 v36, 31, v35
	v_lshlrev_b64 v[0:1], 17, v[33:34]
	s_mov_b32 s0, 0
	s_delay_alu instid0(SALU_CYCLE_1) | instskip(NEXT) | instid1(VALU_DEP_2)
	s_mov_b32 s1, s0
	v_lshlrev_b64 v[2:3], 10, v[35:36]
	s_mov_b32 s2, s0
	s_waitcnt lgkmcnt(0)
	v_add_co_u32 v0, vcc_lo, s12, v0
	v_add_co_ci_u32_e32 v1, vcc_lo, s13, v1, vcc_lo
	s_mov_b32 s3, s0
	s_waitcnt vmcnt(0)
	v_lshlrev_b32_e32 v4, 1, v37
	v_add_co_u32 v5, vcc_lo, v0, v2
	v_add_co_ci_u32_e32 v6, vcc_lo, v1, v3, vcc_lo
	v_dual_mov_b32 v0, s0 :: v_dual_mov_b32 v3, s3
	v_mov_b32_e32 v1, s1
	s_delay_alu instid0(VALU_DEP_4)
	v_add_co_u32 v4, vcc_lo, v5, v4
	v_mov_b32_e32 v2, s2
	v_add_co_ci_u32_e32 v5, vcc_lo, 0, v6, vcc_lo
	s_clause 0x1
	global_store_b128 v[4:5], v[0:3], off
	global_store_b128 v[4:5], v[0:3], off offset:16
.LBB4_18:
	s_nop 0
	s_sendmsg sendmsg(MSG_DEALLOC_VGPRS)
	s_endpgm
.LBB4_19:
	s_or_b32 exec_lo, exec_lo, s2
	s_and_saveexec_b32 s1, vcc_lo
	s_waitcnt lgkmcnt(0)
	s_xor_b32 s6, exec_lo, s1
	s_cbranch_execz .LBB4_13
.LBB4_20:
	v_lshlrev_b64 v[17:18], 3, v[33:34]
	s_mov_b32 s7, exec_lo
	s_delay_alu instid0(VALU_DEP_1) | instskip(NEXT) | instid1(VALU_DEP_2)
	v_add_co_u32 v17, vcc_lo, s4, v17
	v_add_co_ci_u32_e32 v18, vcc_lo, s5, v18, vcc_lo
	global_load_b64 v[17:18], v[17:18], off
	s_waitcnt vmcnt(0)
	v_cmpx_lt_i64_e32 -1, v[17:18]
                                        ; implicit-def: $vgpr34
	s_cbranch_execz .LBB4_321
; %bb.21:
	s_ashr_i32 s16, s14, 31
	v_mov_b32_e32 v19, 0
	v_or_b32_e32 v20, s16, v18
	s_mov_b32 s8, s14
	s_delay_alu instid0(VALU_DEP_1) | instskip(SKIP_1) | instid1(SALU_CYCLE_1)
	v_cmp_ne_u64_e32 vcc_lo, 0, v[19:20]
                                        ; implicit-def: $vgpr19_vgpr20
	s_and_saveexec_b32 s1, vcc_lo
	s_xor_b32 s14, exec_lo, s1
	s_cbranch_execz .LBB4_23
; %bb.22:
	s_add_u32 s4, s8, s16
	s_mov_b32 s2, s16
	s_mov_b32 s3, s16
	s_addc_u32 s5, s16, s16
	s_delay_alu instid0(SALU_CYCLE_1) | instskip(NEXT) | instid1(SALU_CYCLE_1)
	s_xor_b64 s[4:5], s[4:5], s[2:3]
	v_cvt_f32_u32_e32 v19, s4
	v_cvt_f32_u32_e32 v20, s5
	s_sub_u32 s1, 0, s4
	s_subb_u32 s17, 0, s5
	s_delay_alu instid0(VALU_DEP_1) | instskip(NEXT) | instid1(VALU_DEP_1)
	v_fmamk_f32 v19, v20, 0x4f800000, v19
	v_rcp_f32_e32 v19, v19
	s_waitcnt_depctr 0xfff
	v_mul_f32_e32 v19, 0x5f7ffffc, v19
	s_delay_alu instid0(VALU_DEP_1) | instskip(NEXT) | instid1(VALU_DEP_1)
	v_mul_f32_e32 v20, 0x2f800000, v19
	v_trunc_f32_e32 v20, v20
	s_delay_alu instid0(VALU_DEP_1) | instskip(SKIP_1) | instid1(VALU_DEP_2)
	v_fmamk_f32 v19, v20, 0xcf800000, v19
	v_cvt_u32_f32_e32 v20, v20
	v_cvt_u32_f32_e32 v19, v19
	s_delay_alu instid0(VALU_DEP_2) | instskip(NEXT) | instid1(VALU_DEP_2)
	v_mul_lo_u32 v21, s1, v20
	v_mul_hi_u32 v22, s1, v19
	v_mul_lo_u32 v23, s17, v19
	s_delay_alu instid0(VALU_DEP_2) | instskip(SKIP_1) | instid1(VALU_DEP_2)
	v_add_nc_u32_e32 v21, v22, v21
	v_mul_lo_u32 v22, s1, v19
	v_add_nc_u32_e32 v21, v21, v23
	s_delay_alu instid0(VALU_DEP_2) | instskip(NEXT) | instid1(VALU_DEP_2)
	v_mul_hi_u32 v23, v19, v22
	v_mul_lo_u32 v24, v19, v21
	v_mul_hi_u32 v25, v19, v21
	v_mul_hi_u32 v26, v20, v22
	v_mul_lo_u32 v22, v20, v22
	v_mul_hi_u32 v27, v20, v21
	v_mul_lo_u32 v21, v20, v21
	v_add_co_u32 v23, vcc_lo, v23, v24
	v_add_co_ci_u32_e32 v24, vcc_lo, 0, v25, vcc_lo
	s_delay_alu instid0(VALU_DEP_2) | instskip(NEXT) | instid1(VALU_DEP_2)
	v_add_co_u32 v22, vcc_lo, v23, v22
	v_add_co_ci_u32_e32 v22, vcc_lo, v24, v26, vcc_lo
	v_add_co_ci_u32_e32 v23, vcc_lo, 0, v27, vcc_lo
	v_ashrrev_i32_e32 v26, 31, v18
	s_delay_alu instid0(VALU_DEP_3) | instskip(NEXT) | instid1(VALU_DEP_3)
	v_add_co_u32 v21, vcc_lo, v22, v21
	v_add_co_ci_u32_e32 v22, vcc_lo, 0, v23, vcc_lo
	s_delay_alu instid0(VALU_DEP_2) | instskip(NEXT) | instid1(VALU_DEP_2)
	v_add_co_u32 v19, vcc_lo, v19, v21
	v_add_co_ci_u32_e32 v20, vcc_lo, v20, v22, vcc_lo
	s_delay_alu instid0(VALU_DEP_2) | instskip(SKIP_1) | instid1(VALU_DEP_3)
	v_mul_hi_u32 v21, s1, v19
	v_mul_lo_u32 v23, s17, v19
	v_mul_lo_u32 v22, s1, v20
	s_delay_alu instid0(VALU_DEP_1) | instskip(SKIP_1) | instid1(VALU_DEP_2)
	v_add_nc_u32_e32 v21, v21, v22
	v_mul_lo_u32 v22, s1, v19
	v_add_nc_u32_e32 v21, v21, v23
	s_delay_alu instid0(VALU_DEP_2) | instskip(NEXT) | instid1(VALU_DEP_2)
	v_mul_hi_u32 v23, v19, v22
	v_mul_lo_u32 v24, v19, v21
	v_mul_hi_u32 v25, v19, v21
	v_mul_hi_u32 v27, v20, v22
	v_mul_lo_u32 v22, v20, v22
	v_mul_hi_u32 v28, v20, v21
	v_mul_lo_u32 v21, v20, v21
	v_add_co_u32 v23, vcc_lo, v23, v24
	v_add_co_ci_u32_e32 v24, vcc_lo, 0, v25, vcc_lo
	s_delay_alu instid0(VALU_DEP_2) | instskip(NEXT) | instid1(VALU_DEP_2)
	v_add_co_u32 v22, vcc_lo, v23, v22
	v_add_co_ci_u32_e32 v22, vcc_lo, v24, v27, vcc_lo
	v_add_co_ci_u32_e32 v23, vcc_lo, 0, v28, vcc_lo
	v_add_co_u32 v24, vcc_lo, v17, v26
	v_add_co_ci_u32_e32 v25, vcc_lo, v18, v26, vcc_lo
	s_delay_alu instid0(VALU_DEP_4) | instskip(NEXT) | instid1(VALU_DEP_4)
	v_add_co_u32 v21, vcc_lo, v22, v21
	v_add_co_ci_u32_e32 v22, vcc_lo, 0, v23, vcc_lo
	s_delay_alu instid0(VALU_DEP_4) | instskip(NEXT) | instid1(VALU_DEP_3)
	v_xor_b32_e32 v27, v24, v26
	v_add_co_u32 v23, vcc_lo, v19, v21
	s_delay_alu instid0(VALU_DEP_3) | instskip(SKIP_1) | instid1(VALU_DEP_3)
	v_add_co_ci_u32_e32 v28, vcc_lo, v20, v22, vcc_lo
	v_xor_b32_e32 v25, v25, v26
	v_mul_hi_u32 v29, v27, v23
	s_delay_alu instid0(VALU_DEP_3) | instskip(NEXT) | instid1(VALU_DEP_3)
	v_mad_u64_u32 v[19:20], null, v27, v28, 0
	v_mad_u64_u32 v[21:22], null, v25, v23, 0
	;; [unrolled: 1-line block ×3, first 2 shown]
	s_delay_alu instid0(VALU_DEP_3) | instskip(NEXT) | instid1(VALU_DEP_4)
	v_add_co_u32 v19, vcc_lo, v29, v19
	v_add_co_ci_u32_e32 v20, vcc_lo, 0, v20, vcc_lo
	s_delay_alu instid0(VALU_DEP_2) | instskip(NEXT) | instid1(VALU_DEP_2)
	v_add_co_u32 v19, vcc_lo, v19, v21
	v_add_co_ci_u32_e32 v19, vcc_lo, v20, v22, vcc_lo
	v_add_co_ci_u32_e32 v20, vcc_lo, 0, v24, vcc_lo
	s_delay_alu instid0(VALU_DEP_2) | instskip(NEXT) | instid1(VALU_DEP_2)
	v_add_co_u32 v21, vcc_lo, v19, v23
	v_add_co_ci_u32_e32 v22, vcc_lo, 0, v20, vcc_lo
	s_delay_alu instid0(VALU_DEP_2) | instskip(SKIP_1) | instid1(VALU_DEP_3)
	v_mul_lo_u32 v23, s5, v21
	v_mad_u64_u32 v[19:20], null, s4, v21, 0
	v_mul_lo_u32 v24, s4, v22
	s_delay_alu instid0(VALU_DEP_2) | instskip(NEXT) | instid1(VALU_DEP_2)
	v_sub_co_u32 v19, vcc_lo, v27, v19
	v_add3_u32 v20, v20, v24, v23
	s_delay_alu instid0(VALU_DEP_1) | instskip(NEXT) | instid1(VALU_DEP_1)
	v_sub_nc_u32_e32 v23, v25, v20
	v_subrev_co_ci_u32_e64 v23, s1, s5, v23, vcc_lo
	v_add_co_u32 v24, s1, v21, 2
	s_delay_alu instid0(VALU_DEP_1) | instskip(SKIP_3) | instid1(VALU_DEP_3)
	v_add_co_ci_u32_e64 v27, s1, 0, v22, s1
	v_sub_co_u32 v28, s1, v19, s4
	v_sub_co_ci_u32_e32 v20, vcc_lo, v25, v20, vcc_lo
	v_subrev_co_ci_u32_e64 v23, s1, 0, v23, s1
	v_cmp_le_u32_e32 vcc_lo, s4, v28
	s_delay_alu instid0(VALU_DEP_3) | instskip(SKIP_1) | instid1(VALU_DEP_4)
	v_cmp_eq_u32_e64 s1, s5, v20
	v_cndmask_b32_e64 v25, 0, -1, vcc_lo
	v_cmp_le_u32_e32 vcc_lo, s5, v23
	v_cndmask_b32_e64 v28, 0, -1, vcc_lo
	v_cmp_le_u32_e32 vcc_lo, s4, v19
	;; [unrolled: 2-line block ×3, first 2 shown]
	v_cndmask_b32_e64 v29, 0, -1, vcc_lo
	v_cmp_eq_u32_e32 vcc_lo, s5, v23
	s_delay_alu instid0(VALU_DEP_2) | instskip(SKIP_3) | instid1(VALU_DEP_3)
	v_cndmask_b32_e64 v19, v29, v19, s1
	v_cndmask_b32_e32 v23, v28, v25, vcc_lo
	v_add_co_u32 v25, vcc_lo, v21, 1
	v_add_co_ci_u32_e32 v28, vcc_lo, 0, v22, vcc_lo
	v_cmp_ne_u32_e32 vcc_lo, 0, v23
	s_delay_alu instid0(VALU_DEP_2) | instskip(SKIP_2) | instid1(VALU_DEP_3)
	v_dual_cndmask_b32 v20, v28, v27 :: v_dual_cndmask_b32 v23, v25, v24
	v_cmp_ne_u32_e32 vcc_lo, 0, v19
	v_xor_b32_e32 v19, s2, v26
	v_dual_cndmask_b32 v21, v21, v23 :: v_dual_cndmask_b32 v20, v22, v20
	v_xor_b32_e32 v22, s3, v26
	s_delay_alu instid0(VALU_DEP_2) | instskip(NEXT) | instid1(VALU_DEP_2)
	v_xor_b32_e32 v21, v21, v19
	v_xor_b32_e32 v20, v20, v22
	s_delay_alu instid0(VALU_DEP_2) | instskip(NEXT) | instid1(VALU_DEP_2)
	v_sub_co_u32 v19, vcc_lo, v21, v19
	v_sub_co_ci_u32_e32 v20, vcc_lo, v20, v22, vcc_lo
.LBB4_23:
	s_and_not1_saveexec_b32 s1, s14
	s_cbranch_execz .LBB4_25
; %bb.24:
	v_cvt_f32_u32_e32 v19, s8
	s_sub_i32 s2, 0, s8
	s_delay_alu instid0(VALU_DEP_1) | instskip(SKIP_2) | instid1(VALU_DEP_1)
	v_rcp_iflag_f32_e32 v19, v19
	s_waitcnt_depctr 0xfff
	v_mul_f32_e32 v19, 0x4f7ffffe, v19
	v_cvt_u32_f32_e32 v19, v19
	s_delay_alu instid0(VALU_DEP_1) | instskip(NEXT) | instid1(VALU_DEP_1)
	v_mul_lo_u32 v20, s2, v19
	v_mul_hi_u32 v20, v19, v20
	s_delay_alu instid0(VALU_DEP_1) | instskip(NEXT) | instid1(VALU_DEP_1)
	v_add_nc_u32_e32 v19, v19, v20
	v_mul_hi_u32 v19, v17, v19
	s_delay_alu instid0(VALU_DEP_1) | instskip(SKIP_1) | instid1(VALU_DEP_2)
	v_mul_lo_u32 v20, v19, s8
	v_add_nc_u32_e32 v21, 1, v19
	v_sub_nc_u32_e32 v20, v17, v20
	s_delay_alu instid0(VALU_DEP_1) | instskip(SKIP_1) | instid1(VALU_DEP_2)
	v_subrev_nc_u32_e32 v22, s8, v20
	v_cmp_le_u32_e32 vcc_lo, s8, v20
	v_dual_cndmask_b32 v20, v20, v22 :: v_dual_cndmask_b32 v19, v19, v21
	s_delay_alu instid0(VALU_DEP_1) | instskip(NEXT) | instid1(VALU_DEP_2)
	v_cmp_le_u32_e32 vcc_lo, s8, v20
	v_dual_mov_b32 v20, 0 :: v_dual_add_nc_u32 v21, 1, v19
	s_delay_alu instid0(VALU_DEP_1)
	v_cndmask_b32_e32 v19, v19, v21, vcc_lo
.LBB4_25:
	s_or_b32 exec_lo, exec_lo, s1
	v_cvt_f16_f32_e32 v34, v1
	v_cvt_f16_f32_e32 v35, v2
	;; [unrolled: 1-line block ×5, first 2 shown]
	v_cvt_f32_f16_e32 v42, v34
	v_cvt_f32_f16_e32 v33, v35
	;; [unrolled: 1-line block ×4, first 2 shown]
	v_cvt_f16_f32_e32 v41, v6
	v_cvt_f32_f16_e32 v30, v40
	v_max3_f32 v1, |v42|, 0, |v33|
	v_cvt_f16_f32_e32 v7, v7
	v_cvt_f16_f32_e32 v43, v8
	v_cvt_f32_f16_e32 v29, v41
	v_cvt_f16_f32_e32 v8, v9
	v_max3_f32 v1, v1, |v32|, |v31|
	v_cvt_f32_f16_e32 v25, v7
	v_cvt_f32_f16_e32 v27, v43
	v_cvt_f16_f32_e32 v9, v10
	v_cvt_f32_f16_e32 v28, v8
	v_max3_f32 v1, v1, |v30|, |v29|
	v_cvt_f16_f32_e32 v10, v11
	v_cvt_f16_f32_e32 v11, v12
	v_cvt_f32_f16_e32 v26, v9
	v_mbcnt_lo_u32_b32 v5, -1, 0
	v_max3_f32 v1, v1, |v25|, |v27|
	v_cvt_f16_f32_e32 v12, v13
	v_cvt_f32_f16_e32 v24, v10
	v_cvt_f32_f16_e32 v23, v11
	v_cvt_f16_f32_e32 v14, v14
	v_max3_f32 v1, v1, |v28|, |v26|
	v_xor_b32_e32 v2, 1, v5
	v_cvt_f32_f16_e32 v22, v12
	v_cvt_f16_f32_e32 v15, v15
	v_cvt_f16_f32_e32 v44, v16
	v_cvt_f32_f16_e32 v21, v14
	v_max3_f32 v1, v1, |v24|, |v23|
	v_cmp_gt_i32_e32 vcc_lo, 32, v2
	v_cvt_f32_f16_e32 v16, v15
	v_cvt_f32_f16_e32 v13, v44
	v_xor_b32_e32 v48, 2, v5
	v_max3_f32 v1, v1, |v22|, |v21|
	v_cndmask_b32_e32 v2, v5, v2, vcc_lo
	s_ashr_i32 s1, s15, 31
	v_mul_lo_u32 v6, v20, s8
	v_cmp_gt_i32_e32 vcc_lo, 32, v48
	v_max3_f32 v45, v1, |v16|, |v13|
	v_lshlrev_b32_e32 v2, 2, v2
	v_mul_lo_u32 v46, v19, s16
	v_mad_u64_u32 v[3:4], null, v19, s15, s[10:11]
	v_mul_lo_u32 v20, v20, s15
	ds_bpermute_b32 v47, v2, v45
	v_mad_u64_u32 v[1:2], null, v19, s8, 0
	v_mul_lo_u32 v19, v19, s1
	s_delay_alu instid0(VALU_DEP_2) | instskip(NEXT) | instid1(VALU_DEP_2)
	v_add3_u32 v2, v2, v46, v6
	v_add3_u32 v4, v20, v4, v19
	v_cndmask_b32_e32 v19, v5, v48, vcc_lo
	v_sub_co_u32 v5, vcc_lo, v17, v1
	s_delay_alu instid0(VALU_DEP_4) | instskip(NEXT) | instid1(VALU_DEP_3)
	v_sub_co_ci_u32_e32 v6, vcc_lo, v18, v2, vcc_lo
	v_lshlrev_b32_e32 v18, 2, v19
	s_delay_alu instid0(VALU_DEP_3) | instskip(SKIP_2) | instid1(VALU_DEP_1)
	v_mad_u64_u32 v[1:2], null, 0x240, v5, v[3:4]
	s_waitcnt lgkmcnt(0)
	v_max_f32_e32 v17, v47, v47
	v_max_f32_e32 v17, v45, v17
	s_delay_alu instid0(VALU_DEP_3) | instskip(SKIP_3) | instid1(SALU_CYCLE_1)
	v_mad_u64_u32 v[19:20], null, 0x240, v6, v[2:3]
	ds_bpermute_b32 v18, v18, v17
	v_mov_b32_e32 v2, v19
	s_and_saveexec_b32 s1, s0
	s_xor_b32 s1, exec_lo, s1
	s_cbranch_execz .LBB4_319
; %bb.26:
	s_waitcnt lgkmcnt(0)
	v_max3_f32 v7, v17, v18, 0x38d1b717
	s_mov_b32 s0, 0xc3e00000
	s_delay_alu instid0(VALU_DEP_1) | instskip(SKIP_1) | instid1(VALU_DEP_2)
	v_div_scale_f32 v8, null, 0x43e00000, 0x43e00000, v7
	v_div_scale_f32 v11, vcc_lo, v7, 0x43e00000, v7
	v_rcp_f32_e32 v9, v8
	s_waitcnt_depctr 0xfff
	v_fma_f32 v10, -v8, v9, 1.0
	s_delay_alu instid0(VALU_DEP_1) | instskip(NEXT) | instid1(VALU_DEP_1)
	v_fmac_f32_e32 v9, v10, v9
	v_mul_f32_e32 v10, v11, v9
	s_delay_alu instid0(VALU_DEP_1) | instskip(NEXT) | instid1(VALU_DEP_1)
	v_fma_f32 v12, -v8, v10, v11
	v_fmac_f32_e32 v10, v12, v9
	s_delay_alu instid0(VALU_DEP_1) | instskip(NEXT) | instid1(VALU_DEP_1)
	v_fma_f32 v8, -v8, v10, v11
	v_div_fmas_f32 v8, v8, v9, v10
	s_delay_alu instid0(VALU_DEP_1) | instskip(NEXT) | instid1(VALU_DEP_1)
	v_div_fixup_f32 v7, v8, 0x43e00000, v7
	v_cmp_gt_f32_e32 vcc_lo, 0x800000, v7
	v_cndmask_b32_e64 v8, 1.0, 0x4f800000, vcc_lo
	s_delay_alu instid0(VALU_DEP_1) | instskip(SKIP_1) | instid1(VALU_DEP_2)
	v_mul_f32_e32 v7, v7, v8
	v_cndmask_b32_e64 v8, 0, 0x42000000, vcc_lo
	v_log_f32_e32 v7, v7
	s_waitcnt_depctr 0xfff
	v_sub_f32_e32 v7, v7, v8
	s_delay_alu instid0(VALU_DEP_1) | instskip(NEXT) | instid1(VALU_DEP_1)
	v_ceil_f32_e32 v11, v7
	v_cmp_lt_f32_e32 vcc_lo, 0x42fc0000, v11
	v_cndmask_b32_e64 v7, 0, 0x42800000, vcc_lo
	v_cndmask_b32_e64 v8, 1.0, 0x1f800000, vcc_lo
	s_delay_alu instid0(VALU_DEP_2) | instskip(NEXT) | instid1(VALU_DEP_1)
	v_sub_f32_e32 v7, v7, v11
	v_exp_f32_e32 v7, v7
	s_waitcnt_depctr 0xfff
	v_mul_f32_e32 v14, v7, v8
	s_delay_alu instid0(VALU_DEP_1) | instskip(NEXT) | instid1(VALU_DEP_1)
	v_dual_mov_b32 v8, 0 :: v_dual_mul_f32 v7, v14, v42
	v_mov_b32_e32 v18, v8
	s_delay_alu instid0(VALU_DEP_2) | instskip(SKIP_1) | instid1(VALU_DEP_1)
	v_maxmin_f32 v9, v7, s0, 0x43e00000
	s_mov_b32 s0, exec_lo
	v_lshrrev_b32_e32 v10, 24, v9
	v_and_b32_e32 v17, 0x7f800000, v9
	v_and_b32_e32 v7, 0x7fffff, v9
	s_delay_alu instid0(VALU_DEP_3) | instskip(NEXT) | instid1(VALU_DEP_1)
	v_and_b32_e32 v15, 0x80, v10
	v_or_b32_e32 v12, 0x7e, v15
	s_delay_alu instid0(VALU_DEP_4)
	v_cmpx_ne_u64_e32 0x7f800000, v[17:18]
	s_xor_b32 s2, exec_lo, s0
	s_cbranch_execz .LBB4_42
; %bb.27:
	v_dual_mov_b32 v18, v8 :: v_dual_and_b32 v17, 0x7fffffff, v9
	s_mov_b32 s0, exec_lo
	s_delay_alu instid0(VALU_DEP_1)
	v_cmpx_gt_u64_e32 0x43e00001, v[17:18]
	s_xor_b32 s3, exec_lo, s0
	s_cbranch_execz .LBB4_41
; %bb.28:
	v_mov_b32_e32 v12, 0
	s_mov_b32 s4, exec_lo
	v_cmpx_ne_u32_e32 0, v9
	s_cbranch_execz .LBB4_40
; %bb.29:
	v_bfe_u32 v12, v9, 23, 8
	v_or_b32_e32 v18, 0x800000, v7
	s_delay_alu instid0(VALU_DEP_2) | instskip(SKIP_1) | instid1(VALU_DEP_2)
	v_sub_nc_u32_e32 v9, 0x79, v12
	v_cmp_gt_u32_e32 vcc_lo, 0x7a, v12
	v_cndmask_b32_e32 v9, 0, v9, vcc_lo
	v_cmp_eq_u32_e32 vcc_lo, 0, v12
	s_delay_alu instid0(VALU_DEP_2) | instskip(NEXT) | instid1(VALU_DEP_1)
	v_cndmask_b32_e64 v17, v9, 0x78, vcc_lo
	v_dual_cndmask_b32 v7, v18, v7 :: v_dual_add_nc_u32 v18, 19, v17
	v_add_nc_u32_e32 v9, 20, v17
	s_delay_alu instid0(VALU_DEP_1) | instskip(NEXT) | instid1(VALU_DEP_1)
	v_lshlrev_b64 v[9:10], v9, -1
	v_not_b32_e32 v20, v9
	s_delay_alu instid0(VALU_DEP_2) | instskip(SKIP_1) | instid1(VALU_DEP_3)
	v_not_b32_e32 v19, v10
	v_lshlrev_b64 v[9:10], v18, 1
	v_and_b32_e32 v18, v7, v20
	v_lshrrev_b64 v[7:8], v17, v[7:8]
	s_delay_alu instid0(VALU_DEP_4) | instskip(NEXT) | instid1(VALU_DEP_1)
	v_and_b32_e32 v19, 0, v19
	v_cmp_eq_u64_e64 s0, v[18:19], v[9:10]
	s_delay_alu instid0(VALU_DEP_3) | instskip(NEXT) | instid1(VALU_DEP_2)
	v_dual_mov_b32 v10, v8 :: v_dual_mov_b32 v9, v7
	s_and_saveexec_b32 s5, s0
; %bb.30:
	v_bfe_u32 v9, v7, 20, 1
	s_delay_alu instid0(VALU_DEP_1) | instskip(NEXT) | instid1(VALU_DEP_1)
	v_add_co_u32 v9, s0, v7, v9
	v_add_co_u32 v9, s0, v9, -1
; %bb.31:
	s_or_b32 exec_lo, exec_lo, s5
	v_add_nc_u32_e32 v10, 0xffffff81, v12
	v_lshrrev_b32_e32 v12, 23, v7
	s_delay_alu instid0(VALU_DEP_3) | instskip(SKIP_1) | instid1(VALU_DEP_3)
	v_and_b32_e32 v9, 0xfffff, v9
	s_mov_b32 s0, exec_lo
	v_cndmask_b32_e64 v10, v10, 0xffffff82, vcc_lo
	s_delay_alu instid0(VALU_DEP_2) | instskip(SKIP_1) | instid1(VALU_DEP_3)
	v_add_co_u32 v7, vcc_lo, v9, v7
	v_add_co_ci_u32_e32 v8, vcc_lo, 0, v8, vcc_lo
	v_add3_u32 v10, v17, v10, v12
                                        ; implicit-def: $vgpr9
	s_delay_alu instid0(VALU_DEP_1) | instskip(NEXT) | instid1(VALU_DEP_1)
	v_add_nc_u32_e32 v12, 6, v10
	v_cmpx_ne_u32_e32 0, v12
	s_xor_b32 s0, exec_lo, s0
; %bb.32:
	v_cmp_lt_u64_e32 vcc_lo, 0xffffff, v[7:8]
	v_add_nc_u32_e32 v9, 7, v10
	v_cndmask_b32_e64 v10, 0, 1, vcc_lo
	s_delay_alu instid0(VALU_DEP_2) | instskip(NEXT) | instid1(VALU_DEP_2)
	v_cndmask_b32_e32 v9, v12, v9, vcc_lo
	v_lshrrev_b64 v[7:8], v10, v[7:8]
; %bb.33:
	s_and_not1_saveexec_b32 s0, s0
; %bb.34:
	s_delay_alu instid0(VALU_DEP_1)
	v_bfe_u32 v9, v7, 23, 1
; %bb.35:
	s_or_b32 exec_lo, exec_lo, s0
	s_delay_alu instid0(VALU_DEP_2) | instskip(NEXT) | instid1(VALU_DEP_2)
	v_lshrrev_b64 v[7:8], 20, v[7:8]
	v_cmp_gt_i32_e32 vcc_lo, 16, v9
	v_cmp_ne_u32_e64 s0, 0, v9
                                        ; implicit-def: $vgpr12
	s_delay_alu instid0(VALU_DEP_3) | instskip(NEXT) | instid1(VALU_DEP_1)
	v_dual_cndmask_b32 v8, 0, v8 :: v_dual_cndmask_b32 v7, 7, v7
	v_cmp_ne_u64_e32 vcc_lo, 0, v[7:8]
	s_delay_alu instid0(VALU_DEP_3) | instskip(NEXT) | instid1(SALU_CYCLE_1)
	s_or_b32 s0, s0, vcc_lo
	s_and_saveexec_b32 s5, s0
	s_delay_alu instid0(SALU_CYCLE_1)
	s_xor_b32 s0, exec_lo, s5
; %bb.36:
	v_min_i32_e32 v8, 15, v9
	s_delay_alu instid0(VALU_DEP_1) | instskip(NEXT) | instid1(VALU_DEP_1)
	v_lshl_or_b32 v8, v8, 3, v15
                                        ; implicit-def: $vgpr15
	v_and_or_b32 v12, v7, 7, v8
; %bb.37:
	s_and_not1_saveexec_b32 s0, s0
; %bb.38:
	v_mov_b32_e32 v12, v15
; %bb.39:
	s_or_b32 exec_lo, exec_lo, s0
.LBB4_40:
	s_delay_alu instid0(SALU_CYCLE_1)
	s_or_b32 exec_lo, exec_lo, s4
.LBB4_41:
	s_and_not1_saveexec_b32 s0, s3
	s_delay_alu instid0(SALU_CYCLE_1)
	s_or_b32 exec_lo, exec_lo, s0
                                        ; implicit-def: $vgpr10
                                        ; implicit-def: $vgpr7_vgpr8
.LBB4_42:
	s_and_not1_saveexec_b32 s0, s2
; %bb.43:
	v_cmp_eq_u64_e32 vcc_lo, 0, v[7:8]
	v_or_b32_e32 v9, 0x7f, v10
	s_delay_alu instid0(VALU_DEP_1)
	v_cndmask_b32_e32 v12, v9, v12, vcc_lo
; %bb.44:
	s_or_b32 exec_lo, exec_lo, s0
	v_dual_mul_f32 v7, v14, v33 :: v_dual_mov_b32 v8, 0
	s_mov_b32 s0, 0xc3e00000
	s_delay_alu instid0(VALU_DEP_1) | instid1(SALU_CYCLE_1)
	v_maxmin_f32 v9, v7, s0, 0x43e00000
	s_mov_b32 s0, exec_lo
	s_delay_alu instid0(VALU_DEP_2) | instskip(NEXT) | instid1(VALU_DEP_2)
	v_mov_b32_e32 v19, v8
	v_lshrrev_b32_e32 v10, 24, v9
	v_and_b32_e32 v18, 0x7f800000, v9
	v_and_b32_e32 v7, 0x7fffff, v9
	s_delay_alu instid0(VALU_DEP_3) | instskip(NEXT) | instid1(VALU_DEP_1)
	v_and_b32_e32 v17, 0x80, v10
	v_or_b32_e32 v15, 0x7e, v17
	s_delay_alu instid0(VALU_DEP_4)
	v_cmpx_ne_u64_e32 0x7f800000, v[18:19]
	s_xor_b32 s2, exec_lo, s0
	s_cbranch_execz .LBB4_60
; %bb.45:
	v_dual_mov_b32 v19, v8 :: v_dual_and_b32 v18, 0x7fffffff, v9
	s_mov_b32 s0, exec_lo
	s_delay_alu instid0(VALU_DEP_1)
	v_cmpx_gt_u64_e32 0x43e00001, v[18:19]
	s_xor_b32 s3, exec_lo, s0
	s_cbranch_execz .LBB4_59
; %bb.46:
	v_mov_b32_e32 v15, 0
	s_mov_b32 s4, exec_lo
	v_cmpx_ne_u32_e32 0, v9
	s_cbranch_execz .LBB4_58
; %bb.47:
	v_bfe_u32 v15, v9, 23, 8
	v_or_b32_e32 v19, 0x800000, v7
	s_delay_alu instid0(VALU_DEP_2) | instskip(SKIP_1) | instid1(VALU_DEP_2)
	v_sub_nc_u32_e32 v9, 0x79, v15
	v_cmp_gt_u32_e32 vcc_lo, 0x7a, v15
	v_cndmask_b32_e32 v9, 0, v9, vcc_lo
	v_cmp_eq_u32_e32 vcc_lo, 0, v15
	s_delay_alu instid0(VALU_DEP_2) | instskip(SKIP_1) | instid1(VALU_DEP_2)
	v_cndmask_b32_e64 v18, v9, 0x78, vcc_lo
	v_cndmask_b32_e32 v7, v19, v7, vcc_lo
	v_add_nc_u32_e32 v9, 20, v18
	v_add_nc_u32_e32 v19, 19, v18
	s_delay_alu instid0(VALU_DEP_2) | instskip(NEXT) | instid1(VALU_DEP_1)
	v_lshlrev_b64 v[9:10], v9, -1
	v_not_b32_e32 v33, v9
	s_delay_alu instid0(VALU_DEP_2) | instskip(NEXT) | instid1(VALU_DEP_4)
	v_not_b32_e32 v20, v10
	v_lshlrev_b64 v[9:10], v19, 1
	s_delay_alu instid0(VALU_DEP_3) | instskip(SKIP_1) | instid1(VALU_DEP_4)
	v_and_b32_e32 v19, v7, v33
	v_lshrrev_b64 v[7:8], v18, v[7:8]
	v_and_b32_e32 v20, 0, v20
	s_delay_alu instid0(VALU_DEP_1) | instskip(NEXT) | instid1(VALU_DEP_3)
	v_cmp_eq_u64_e64 s0, v[19:20], v[9:10]
	v_dual_mov_b32 v10, v8 :: v_dual_mov_b32 v9, v7
	s_delay_alu instid0(VALU_DEP_2)
	s_and_saveexec_b32 s5, s0
; %bb.48:
	v_bfe_u32 v9, v7, 20, 1
	s_delay_alu instid0(VALU_DEP_1) | instskip(NEXT) | instid1(VALU_DEP_1)
	v_add_co_u32 v9, s0, v7, v9
	v_add_co_u32 v9, s0, v9, -1
; %bb.49:
	s_or_b32 exec_lo, exec_lo, s5
	v_add_nc_u32_e32 v10, 0xffffff81, v15
	v_lshrrev_b32_e32 v15, 23, v7
	s_delay_alu instid0(VALU_DEP_3) | instskip(SKIP_1) | instid1(VALU_DEP_3)
	v_and_b32_e32 v9, 0xfffff, v9
	s_mov_b32 s0, exec_lo
	v_cndmask_b32_e64 v10, v10, 0xffffff82, vcc_lo
	s_delay_alu instid0(VALU_DEP_2) | instskip(SKIP_1) | instid1(VALU_DEP_3)
	v_add_co_u32 v7, vcc_lo, v9, v7
	v_add_co_ci_u32_e32 v8, vcc_lo, 0, v8, vcc_lo
	v_add3_u32 v10, v18, v10, v15
                                        ; implicit-def: $vgpr9
	s_delay_alu instid0(VALU_DEP_1) | instskip(NEXT) | instid1(VALU_DEP_1)
	v_add_nc_u32_e32 v15, 6, v10
	v_cmpx_ne_u32_e32 0, v15
	s_xor_b32 s0, exec_lo, s0
; %bb.50:
	v_cmp_lt_u64_e32 vcc_lo, 0xffffff, v[7:8]
	v_add_nc_u32_e32 v9, 7, v10
	v_cndmask_b32_e64 v10, 0, 1, vcc_lo
	s_delay_alu instid0(VALU_DEP_2) | instskip(NEXT) | instid1(VALU_DEP_2)
	v_cndmask_b32_e32 v9, v15, v9, vcc_lo
	v_lshrrev_b64 v[7:8], v10, v[7:8]
; %bb.51:
	s_and_not1_saveexec_b32 s0, s0
; %bb.52:
	s_delay_alu instid0(VALU_DEP_1)
	v_bfe_u32 v9, v7, 23, 1
; %bb.53:
	s_or_b32 exec_lo, exec_lo, s0
	s_delay_alu instid0(VALU_DEP_2) | instskip(NEXT) | instid1(VALU_DEP_2)
	v_lshrrev_b64 v[7:8], 20, v[7:8]
	v_cmp_gt_i32_e32 vcc_lo, 16, v9
	v_cmp_ne_u32_e64 s0, 0, v9
                                        ; implicit-def: $vgpr15
	s_delay_alu instid0(VALU_DEP_3) | instskip(NEXT) | instid1(VALU_DEP_1)
	v_dual_cndmask_b32 v8, 0, v8 :: v_dual_cndmask_b32 v7, 7, v7
	v_cmp_ne_u64_e32 vcc_lo, 0, v[7:8]
	s_delay_alu instid0(VALU_DEP_3) | instskip(NEXT) | instid1(SALU_CYCLE_1)
	s_or_b32 s0, s0, vcc_lo
	s_and_saveexec_b32 s5, s0
	s_delay_alu instid0(SALU_CYCLE_1)
	s_xor_b32 s0, exec_lo, s5
; %bb.54:
	v_min_i32_e32 v8, 15, v9
	s_delay_alu instid0(VALU_DEP_1) | instskip(NEXT) | instid1(VALU_DEP_1)
	v_lshl_or_b32 v8, v8, 3, v17
                                        ; implicit-def: $vgpr17
	v_and_or_b32 v15, v7, 7, v8
; %bb.55:
	s_and_not1_saveexec_b32 s0, s0
; %bb.56:
	v_mov_b32_e32 v15, v17
; %bb.57:
	s_or_b32 exec_lo, exec_lo, s0
.LBB4_58:
	s_delay_alu instid0(SALU_CYCLE_1)
	s_or_b32 exec_lo, exec_lo, s4
.LBB4_59:
	s_and_not1_saveexec_b32 s0, s3
	s_delay_alu instid0(SALU_CYCLE_1)
	s_or_b32 exec_lo, exec_lo, s0
                                        ; implicit-def: $vgpr10
                                        ; implicit-def: $vgpr7_vgpr8
.LBB4_60:
	s_and_not1_saveexec_b32 s0, s2
; %bb.61:
	v_cmp_eq_u64_e32 vcc_lo, 0, v[7:8]
	v_or_b32_e32 v9, 0x7f, v10
	s_delay_alu instid0(VALU_DEP_1)
	v_cndmask_b32_e32 v15, v9, v15, vcc_lo
; %bb.62:
	s_or_b32 exec_lo, exec_lo, s0
	v_dual_mul_f32 v7, v14, v32 :: v_dual_mov_b32 v8, 0
	s_mov_b32 s0, 0xc3e00000
	s_delay_alu instid0(VALU_DEP_1) | instid1(SALU_CYCLE_1)
	v_maxmin_f32 v9, v7, s0, 0x43e00000
	s_mov_b32 s0, exec_lo
	s_delay_alu instid0(VALU_DEP_2) | instskip(NEXT) | instid1(VALU_DEP_2)
	v_mov_b32_e32 v20, v8
	v_lshrrev_b32_e32 v10, 24, v9
	v_and_b32_e32 v19, 0x7f800000, v9
	v_and_b32_e32 v7, 0x7fffff, v9
	s_delay_alu instid0(VALU_DEP_3) | instskip(NEXT) | instid1(VALU_DEP_1)
	v_and_b32_e32 v18, 0x80, v10
	v_or_b32_e32 v17, 0x7e, v18
	s_delay_alu instid0(VALU_DEP_4)
	v_cmpx_ne_u64_e32 0x7f800000, v[19:20]
	s_xor_b32 s2, exec_lo, s0
	s_cbranch_execz .LBB4_78
; %bb.63:
	v_dual_mov_b32 v20, v8 :: v_dual_and_b32 v19, 0x7fffffff, v9
	s_mov_b32 s0, exec_lo
	s_delay_alu instid0(VALU_DEP_1)
	v_cmpx_gt_u64_e32 0x43e00001, v[19:20]
	s_xor_b32 s3, exec_lo, s0
	s_cbranch_execz .LBB4_77
; %bb.64:
	v_mov_b32_e32 v17, 0
	s_mov_b32 s4, exec_lo
	v_cmpx_ne_u32_e32 0, v9
	s_cbranch_execz .LBB4_76
; %bb.65:
	v_bfe_u32 v17, v9, 23, 8
	v_or_b32_e32 v20, 0x800000, v7
	s_delay_alu instid0(VALU_DEP_2) | instskip(SKIP_1) | instid1(VALU_DEP_2)
	v_sub_nc_u32_e32 v9, 0x79, v17
	v_cmp_gt_u32_e32 vcc_lo, 0x7a, v17
	v_cndmask_b32_e32 v9, 0, v9, vcc_lo
	v_cmp_eq_u32_e32 vcc_lo, 0, v17
	s_delay_alu instid0(VALU_DEP_2) | instskip(SKIP_1) | instid1(VALU_DEP_2)
	v_cndmask_b32_e64 v19, v9, 0x78, vcc_lo
	v_cndmask_b32_e32 v7, v20, v7, vcc_lo
	v_add_nc_u32_e32 v20, 19, v19
	v_add_nc_u32_e32 v9, 20, v19
	s_delay_alu instid0(VALU_DEP_1) | instskip(NEXT) | instid1(VALU_DEP_1)
	v_lshlrev_b64 v[9:10], v9, -1
	v_not_b32_e32 v32, v10
	s_delay_alu instid0(VALU_DEP_2) | instskip(SKIP_1) | instid1(VALU_DEP_3)
	v_not_b32_e32 v34, v9
	v_lshlrev_b64 v[9:10], v20, 1
	v_and_b32_e32 v33, 0, v32
	s_delay_alu instid0(VALU_DEP_3) | instskip(SKIP_1) | instid1(VALU_DEP_2)
	v_and_b32_e32 v32, v7, v34
	v_lshrrev_b64 v[7:8], v19, v[7:8]
	v_cmp_eq_u64_e64 s0, v[32:33], v[9:10]
	s_delay_alu instid0(VALU_DEP_2) | instskip(NEXT) | instid1(VALU_DEP_2)
	v_dual_mov_b32 v10, v8 :: v_dual_mov_b32 v9, v7
	s_and_saveexec_b32 s5, s0
; %bb.66:
	v_bfe_u32 v9, v7, 20, 1
	s_delay_alu instid0(VALU_DEP_1) | instskip(NEXT) | instid1(VALU_DEP_1)
	v_add_co_u32 v9, s0, v7, v9
	v_add_co_u32 v9, s0, v9, -1
; %bb.67:
	s_or_b32 exec_lo, exec_lo, s5
	v_add_nc_u32_e32 v10, 0xffffff81, v17
	v_lshrrev_b32_e32 v17, 23, v7
	s_delay_alu instid0(VALU_DEP_3) | instskip(SKIP_1) | instid1(VALU_DEP_3)
	v_and_b32_e32 v9, 0xfffff, v9
	s_mov_b32 s0, exec_lo
	v_cndmask_b32_e64 v10, v10, 0xffffff82, vcc_lo
	s_delay_alu instid0(VALU_DEP_2) | instskip(SKIP_1) | instid1(VALU_DEP_3)
	v_add_co_u32 v7, vcc_lo, v9, v7
	v_add_co_ci_u32_e32 v8, vcc_lo, 0, v8, vcc_lo
	v_add3_u32 v10, v19, v10, v17
                                        ; implicit-def: $vgpr9
	s_delay_alu instid0(VALU_DEP_1) | instskip(NEXT) | instid1(VALU_DEP_1)
	v_add_nc_u32_e32 v17, 6, v10
	v_cmpx_ne_u32_e32 0, v17
	s_xor_b32 s0, exec_lo, s0
; %bb.68:
	v_cmp_lt_u64_e32 vcc_lo, 0xffffff, v[7:8]
	v_add_nc_u32_e32 v9, 7, v10
	v_cndmask_b32_e64 v10, 0, 1, vcc_lo
	s_delay_alu instid0(VALU_DEP_2) | instskip(NEXT) | instid1(VALU_DEP_2)
	v_cndmask_b32_e32 v9, v17, v9, vcc_lo
	v_lshrrev_b64 v[7:8], v10, v[7:8]
; %bb.69:
	s_and_not1_saveexec_b32 s0, s0
; %bb.70:
	s_delay_alu instid0(VALU_DEP_1)
	v_bfe_u32 v9, v7, 23, 1
; %bb.71:
	s_or_b32 exec_lo, exec_lo, s0
	s_delay_alu instid0(VALU_DEP_2) | instskip(NEXT) | instid1(VALU_DEP_2)
	v_lshrrev_b64 v[7:8], 20, v[7:8]
	v_cmp_gt_i32_e32 vcc_lo, 16, v9
	v_cmp_ne_u32_e64 s0, 0, v9
                                        ; implicit-def: $vgpr17
	s_delay_alu instid0(VALU_DEP_3) | instskip(NEXT) | instid1(VALU_DEP_1)
	v_dual_cndmask_b32 v8, 0, v8 :: v_dual_cndmask_b32 v7, 7, v7
	v_cmp_ne_u64_e32 vcc_lo, 0, v[7:8]
	s_delay_alu instid0(VALU_DEP_3) | instskip(NEXT) | instid1(SALU_CYCLE_1)
	s_or_b32 s0, s0, vcc_lo
	s_and_saveexec_b32 s5, s0
	s_delay_alu instid0(SALU_CYCLE_1)
	s_xor_b32 s0, exec_lo, s5
; %bb.72:
	v_min_i32_e32 v8, 15, v9
	s_delay_alu instid0(VALU_DEP_1) | instskip(NEXT) | instid1(VALU_DEP_1)
	v_lshl_or_b32 v8, v8, 3, v18
                                        ; implicit-def: $vgpr18
	v_and_or_b32 v17, v7, 7, v8
; %bb.73:
	s_and_not1_saveexec_b32 s0, s0
; %bb.74:
	v_mov_b32_e32 v17, v18
; %bb.75:
	s_or_b32 exec_lo, exec_lo, s0
.LBB4_76:
	s_delay_alu instid0(SALU_CYCLE_1)
	s_or_b32 exec_lo, exec_lo, s4
.LBB4_77:
	s_and_not1_saveexec_b32 s0, s3
	s_delay_alu instid0(SALU_CYCLE_1)
	s_or_b32 exec_lo, exec_lo, s0
                                        ; implicit-def: $vgpr10
                                        ; implicit-def: $vgpr7_vgpr8
.LBB4_78:
	s_and_not1_saveexec_b32 s0, s2
; %bb.79:
	v_cmp_eq_u64_e32 vcc_lo, 0, v[7:8]
	v_or_b32_e32 v9, 0x7f, v10
	s_delay_alu instid0(VALU_DEP_1)
	v_cndmask_b32_e32 v17, v9, v17, vcc_lo
; %bb.80:
	s_or_b32 exec_lo, exec_lo, s0
	v_dual_mul_f32 v7, v14, v31 :: v_dual_mov_b32 v8, 0
	s_mov_b32 s0, 0xc3e00000
	s_delay_alu instid0(VALU_DEP_1) | instid1(SALU_CYCLE_1)
	v_maxmin_f32 v9, v7, s0, 0x43e00000
	s_mov_b32 s0, exec_lo
	s_delay_alu instid0(VALU_DEP_2) | instskip(NEXT) | instid1(VALU_DEP_2)
	v_mov_b32_e32 v32, v8
	v_lshrrev_b32_e32 v10, 24, v9
	v_and_b32_e32 v31, 0x7f800000, v9
	v_and_b32_e32 v7, 0x7fffff, v9
	s_delay_alu instid0(VALU_DEP_3) | instskip(NEXT) | instid1(VALU_DEP_1)
	v_and_b32_e32 v19, 0x80, v10
	v_or_b32_e32 v18, 0x7e, v19
	s_delay_alu instid0(VALU_DEP_4)
	v_cmpx_ne_u64_e32 0x7f800000, v[31:32]
	s_xor_b32 s2, exec_lo, s0
	s_cbranch_execz .LBB4_96
; %bb.81:
	v_dual_mov_b32 v32, v8 :: v_dual_and_b32 v31, 0x7fffffff, v9
	s_mov_b32 s0, exec_lo
	s_delay_alu instid0(VALU_DEP_1)
	v_cmpx_gt_u64_e32 0x43e00001, v[31:32]
	s_xor_b32 s3, exec_lo, s0
	s_cbranch_execz .LBB4_95
; %bb.82:
	v_mov_b32_e32 v18, 0
	s_mov_b32 s4, exec_lo
	v_cmpx_ne_u32_e32 0, v9
	s_cbranch_execz .LBB4_94
; %bb.83:
	v_bfe_u32 v18, v9, 23, 8
	v_or_b32_e32 v31, 0x800000, v7
	s_delay_alu instid0(VALU_DEP_2) | instskip(SKIP_1) | instid1(VALU_DEP_2)
	v_sub_nc_u32_e32 v9, 0x79, v18
	v_cmp_gt_u32_e32 vcc_lo, 0x7a, v18
	v_cndmask_b32_e32 v9, 0, v9, vcc_lo
	v_cmp_eq_u32_e32 vcc_lo, 0, v18
	s_delay_alu instid0(VALU_DEP_2) | instskip(SKIP_1) | instid1(VALU_DEP_2)
	v_cndmask_b32_e64 v20, v9, 0x78, vcc_lo
	v_cndmask_b32_e32 v7, v31, v7, vcc_lo
	v_add_nc_u32_e32 v9, 20, v20
	v_add_nc_u32_e32 v31, 19, v20
	s_delay_alu instid0(VALU_DEP_2) | instskip(NEXT) | instid1(VALU_DEP_1)
	v_lshlrev_b64 v[9:10], v9, -1
	v_not_b32_e32 v33, v9
	s_delay_alu instid0(VALU_DEP_2) | instskip(NEXT) | instid1(VALU_DEP_4)
	v_not_b32_e32 v32, v10
	v_lshlrev_b64 v[9:10], v31, 1
	s_delay_alu instid0(VALU_DEP_3) | instskip(SKIP_1) | instid1(VALU_DEP_4)
	v_and_b32_e32 v31, v7, v33
	v_lshrrev_b64 v[7:8], v20, v[7:8]
	v_and_b32_e32 v32, 0, v32
	s_delay_alu instid0(VALU_DEP_1) | instskip(NEXT) | instid1(VALU_DEP_3)
	v_cmp_eq_u64_e64 s0, v[31:32], v[9:10]
	v_dual_mov_b32 v10, v8 :: v_dual_mov_b32 v9, v7
	s_delay_alu instid0(VALU_DEP_2)
	s_and_saveexec_b32 s5, s0
; %bb.84:
	v_bfe_u32 v9, v7, 20, 1
	s_delay_alu instid0(VALU_DEP_1) | instskip(NEXT) | instid1(VALU_DEP_1)
	v_add_co_u32 v9, s0, v7, v9
	v_add_co_u32 v9, s0, v9, -1
; %bb.85:
	s_or_b32 exec_lo, exec_lo, s5
	v_add_nc_u32_e32 v10, 0xffffff81, v18
	v_lshrrev_b32_e32 v18, 23, v7
	s_delay_alu instid0(VALU_DEP_3) | instskip(SKIP_1) | instid1(VALU_DEP_3)
	v_and_b32_e32 v9, 0xfffff, v9
	s_mov_b32 s0, exec_lo
	v_cndmask_b32_e64 v10, v10, 0xffffff82, vcc_lo
	s_delay_alu instid0(VALU_DEP_2) | instskip(SKIP_1) | instid1(VALU_DEP_3)
	v_add_co_u32 v7, vcc_lo, v9, v7
	v_add_co_ci_u32_e32 v8, vcc_lo, 0, v8, vcc_lo
	v_add3_u32 v10, v20, v10, v18
                                        ; implicit-def: $vgpr9
	s_delay_alu instid0(VALU_DEP_1) | instskip(NEXT) | instid1(VALU_DEP_1)
	v_add_nc_u32_e32 v18, 6, v10
	v_cmpx_ne_u32_e32 0, v18
	s_xor_b32 s0, exec_lo, s0
; %bb.86:
	v_cmp_lt_u64_e32 vcc_lo, 0xffffff, v[7:8]
	v_add_nc_u32_e32 v9, 7, v10
	v_cndmask_b32_e64 v10, 0, 1, vcc_lo
	s_delay_alu instid0(VALU_DEP_2) | instskip(NEXT) | instid1(VALU_DEP_2)
	v_cndmask_b32_e32 v9, v18, v9, vcc_lo
	v_lshrrev_b64 v[7:8], v10, v[7:8]
; %bb.87:
	s_and_not1_saveexec_b32 s0, s0
; %bb.88:
	s_delay_alu instid0(VALU_DEP_1)
	v_bfe_u32 v9, v7, 23, 1
; %bb.89:
	s_or_b32 exec_lo, exec_lo, s0
	s_delay_alu instid0(VALU_DEP_2) | instskip(NEXT) | instid1(VALU_DEP_2)
	v_lshrrev_b64 v[7:8], 20, v[7:8]
	v_cmp_gt_i32_e32 vcc_lo, 16, v9
	v_cmp_ne_u32_e64 s0, 0, v9
                                        ; implicit-def: $vgpr18
	s_delay_alu instid0(VALU_DEP_3) | instskip(NEXT) | instid1(VALU_DEP_1)
	v_dual_cndmask_b32 v8, 0, v8 :: v_dual_cndmask_b32 v7, 7, v7
	v_cmp_ne_u64_e32 vcc_lo, 0, v[7:8]
	s_delay_alu instid0(VALU_DEP_3) | instskip(NEXT) | instid1(SALU_CYCLE_1)
	s_or_b32 s0, s0, vcc_lo
	s_and_saveexec_b32 s5, s0
	s_delay_alu instid0(SALU_CYCLE_1)
	s_xor_b32 s0, exec_lo, s5
; %bb.90:
	v_min_i32_e32 v8, 15, v9
	s_delay_alu instid0(VALU_DEP_1) | instskip(NEXT) | instid1(VALU_DEP_1)
	v_lshl_or_b32 v8, v8, 3, v19
                                        ; implicit-def: $vgpr19
	v_and_or_b32 v18, v7, 7, v8
; %bb.91:
	s_and_not1_saveexec_b32 s0, s0
; %bb.92:
	v_mov_b32_e32 v18, v19
; %bb.93:
	s_or_b32 exec_lo, exec_lo, s0
.LBB4_94:
	s_delay_alu instid0(SALU_CYCLE_1)
	s_or_b32 exec_lo, exec_lo, s4
.LBB4_95:
	s_and_not1_saveexec_b32 s0, s3
	s_delay_alu instid0(SALU_CYCLE_1)
	s_or_b32 exec_lo, exec_lo, s0
                                        ; implicit-def: $vgpr10
                                        ; implicit-def: $vgpr7_vgpr8
.LBB4_96:
	s_and_not1_saveexec_b32 s0, s2
; %bb.97:
	v_cmp_eq_u64_e32 vcc_lo, 0, v[7:8]
	v_or_b32_e32 v9, 0x7f, v10
	s_delay_alu instid0(VALU_DEP_1)
	v_cndmask_b32_e32 v18, v9, v18, vcc_lo
; %bb.98:
	s_or_b32 exec_lo, exec_lo, s0
	v_dual_mul_f32 v7, v14, v30 :: v_dual_mov_b32 v8, 0
	s_mov_b32 s0, 0xc3e00000
	s_delay_alu instid0(VALU_DEP_1) | instid1(SALU_CYCLE_1)
	v_maxmin_f32 v9, v7, s0, 0x43e00000
	s_mov_b32 s0, exec_lo
	s_delay_alu instid0(VALU_DEP_2) | instskip(NEXT) | instid1(VALU_DEP_2)
	v_mov_b32_e32 v31, v8
	v_lshrrev_b32_e32 v10, 24, v9
	v_and_b32_e32 v30, 0x7f800000, v9
	v_and_b32_e32 v7, 0x7fffff, v9
	s_delay_alu instid0(VALU_DEP_3) | instskip(NEXT) | instid1(VALU_DEP_1)
	v_and_b32_e32 v20, 0x80, v10
	v_or_b32_e32 v19, 0x7e, v20
	s_delay_alu instid0(VALU_DEP_4)
	v_cmpx_ne_u64_e32 0x7f800000, v[30:31]
	s_xor_b32 s2, exec_lo, s0
	s_cbranch_execz .LBB4_114
; %bb.99:
	v_dual_mov_b32 v31, v8 :: v_dual_and_b32 v30, 0x7fffffff, v9
	s_mov_b32 s0, exec_lo
	s_delay_alu instid0(VALU_DEP_1)
	v_cmpx_gt_u64_e32 0x43e00001, v[30:31]
	s_xor_b32 s3, exec_lo, s0
	s_cbranch_execz .LBB4_113
; %bb.100:
	v_mov_b32_e32 v19, 0
	s_mov_b32 s4, exec_lo
	v_cmpx_ne_u32_e32 0, v9
	s_cbranch_execz .LBB4_112
; %bb.101:
	v_bfe_u32 v19, v9, 23, 8
	v_or_b32_e32 v31, 0x800000, v7
	s_delay_alu instid0(VALU_DEP_2) | instskip(SKIP_1) | instid1(VALU_DEP_2)
	v_sub_nc_u32_e32 v9, 0x79, v19
	v_cmp_gt_u32_e32 vcc_lo, 0x7a, v19
	v_cndmask_b32_e32 v9, 0, v9, vcc_lo
	v_cmp_eq_u32_e32 vcc_lo, 0, v19
	s_delay_alu instid0(VALU_DEP_2) | instskip(SKIP_1) | instid1(VALU_DEP_2)
	v_cndmask_b32_e64 v30, v9, 0x78, vcc_lo
	v_cndmask_b32_e32 v7, v31, v7, vcc_lo
	v_add_nc_u32_e32 v9, 20, v30
	v_add_nc_u32_e32 v31, 19, v30
	s_delay_alu instid0(VALU_DEP_2) | instskip(NEXT) | instid1(VALU_DEP_1)
	v_lshlrev_b64 v[9:10], v9, -1
	v_not_b32_e32 v33, v9
	s_delay_alu instid0(VALU_DEP_2) | instskip(NEXT) | instid1(VALU_DEP_4)
	v_not_b32_e32 v32, v10
	v_lshlrev_b64 v[9:10], v31, 1
	s_delay_alu instid0(VALU_DEP_3) | instskip(SKIP_1) | instid1(VALU_DEP_4)
	v_and_b32_e32 v31, v7, v33
	v_lshrrev_b64 v[7:8], v30, v[7:8]
	v_and_b32_e32 v32, 0, v32
	s_delay_alu instid0(VALU_DEP_1) | instskip(NEXT) | instid1(VALU_DEP_3)
	v_cmp_eq_u64_e64 s0, v[31:32], v[9:10]
	v_dual_mov_b32 v10, v8 :: v_dual_mov_b32 v9, v7
	s_delay_alu instid0(VALU_DEP_2)
	s_and_saveexec_b32 s5, s0
; %bb.102:
	v_bfe_u32 v9, v7, 20, 1
	s_delay_alu instid0(VALU_DEP_1) | instskip(NEXT) | instid1(VALU_DEP_1)
	v_add_co_u32 v9, s0, v7, v9
	v_add_co_u32 v9, s0, v9, -1
; %bb.103:
	s_or_b32 exec_lo, exec_lo, s5
	v_add_nc_u32_e32 v10, 0xffffff81, v19
	v_lshrrev_b32_e32 v19, 23, v7
	s_delay_alu instid0(VALU_DEP_3) | instskip(SKIP_1) | instid1(VALU_DEP_3)
	v_and_b32_e32 v9, 0xfffff, v9
	s_mov_b32 s0, exec_lo
	v_cndmask_b32_e64 v10, v10, 0xffffff82, vcc_lo
	s_delay_alu instid0(VALU_DEP_2) | instskip(SKIP_1) | instid1(VALU_DEP_3)
	v_add_co_u32 v7, vcc_lo, v9, v7
	v_add_co_ci_u32_e32 v8, vcc_lo, 0, v8, vcc_lo
	v_add3_u32 v10, v30, v10, v19
                                        ; implicit-def: $vgpr9
	s_delay_alu instid0(VALU_DEP_1) | instskip(NEXT) | instid1(VALU_DEP_1)
	v_add_nc_u32_e32 v19, 6, v10
	v_cmpx_ne_u32_e32 0, v19
	s_xor_b32 s0, exec_lo, s0
; %bb.104:
	v_cmp_lt_u64_e32 vcc_lo, 0xffffff, v[7:8]
	v_add_nc_u32_e32 v9, 7, v10
	v_cndmask_b32_e64 v10, 0, 1, vcc_lo
	s_delay_alu instid0(VALU_DEP_2) | instskip(NEXT) | instid1(VALU_DEP_2)
	v_cndmask_b32_e32 v9, v19, v9, vcc_lo
	v_lshrrev_b64 v[7:8], v10, v[7:8]
; %bb.105:
	s_and_not1_saveexec_b32 s0, s0
; %bb.106:
	s_delay_alu instid0(VALU_DEP_1)
	v_bfe_u32 v9, v7, 23, 1
; %bb.107:
	s_or_b32 exec_lo, exec_lo, s0
	s_delay_alu instid0(VALU_DEP_2) | instskip(NEXT) | instid1(VALU_DEP_2)
	v_lshrrev_b64 v[7:8], 20, v[7:8]
	v_cmp_gt_i32_e32 vcc_lo, 16, v9
	v_cmp_ne_u32_e64 s0, 0, v9
                                        ; implicit-def: $vgpr19
	s_delay_alu instid0(VALU_DEP_3) | instskip(NEXT) | instid1(VALU_DEP_1)
	v_dual_cndmask_b32 v8, 0, v8 :: v_dual_cndmask_b32 v7, 7, v7
	v_cmp_ne_u64_e32 vcc_lo, 0, v[7:8]
	s_delay_alu instid0(VALU_DEP_3) | instskip(NEXT) | instid1(SALU_CYCLE_1)
	s_or_b32 s0, s0, vcc_lo
	s_and_saveexec_b32 s5, s0
	s_delay_alu instid0(SALU_CYCLE_1)
	s_xor_b32 s0, exec_lo, s5
; %bb.108:
	v_min_i32_e32 v8, 15, v9
	s_delay_alu instid0(VALU_DEP_1) | instskip(NEXT) | instid1(VALU_DEP_1)
	v_lshl_or_b32 v8, v8, 3, v20
                                        ; implicit-def: $vgpr20
	v_and_or_b32 v19, v7, 7, v8
; %bb.109:
	s_and_not1_saveexec_b32 s0, s0
; %bb.110:
	v_mov_b32_e32 v19, v20
; %bb.111:
	s_or_b32 exec_lo, exec_lo, s0
.LBB4_112:
	s_delay_alu instid0(SALU_CYCLE_1)
	s_or_b32 exec_lo, exec_lo, s4
.LBB4_113:
	s_and_not1_saveexec_b32 s0, s3
	s_delay_alu instid0(SALU_CYCLE_1)
	s_or_b32 exec_lo, exec_lo, s0
                                        ; implicit-def: $vgpr10
                                        ; implicit-def: $vgpr7_vgpr8
.LBB4_114:
	s_and_not1_saveexec_b32 s0, s2
; %bb.115:
	v_cmp_eq_u64_e32 vcc_lo, 0, v[7:8]
	v_or_b32_e32 v9, 0x7f, v10
	s_delay_alu instid0(VALU_DEP_1)
	v_cndmask_b32_e32 v19, v9, v19, vcc_lo
; %bb.116:
	s_or_b32 exec_lo, exec_lo, s0
	v_dual_mul_f32 v7, v14, v29 :: v_dual_mov_b32 v8, 0
	s_mov_b32 s0, 0xc3e00000
	s_delay_alu instid0(VALU_DEP_1) | instid1(SALU_CYCLE_1)
	v_maxmin_f32 v9, v7, s0, 0x43e00000
	s_mov_b32 s0, exec_lo
	s_delay_alu instid0(VALU_DEP_2) | instskip(NEXT) | instid1(VALU_DEP_2)
	v_mov_b32_e32 v31, v8
	v_lshrrev_b32_e32 v10, 24, v9
	v_and_b32_e32 v30, 0x7f800000, v9
	v_and_b32_e32 v7, 0x7fffff, v9
	s_delay_alu instid0(VALU_DEP_3) | instskip(NEXT) | instid1(VALU_DEP_1)
	v_and_b32_e32 v29, 0x80, v10
	v_or_b32_e32 v20, 0x7e, v29
	s_delay_alu instid0(VALU_DEP_4)
	v_cmpx_ne_u64_e32 0x7f800000, v[30:31]
	s_xor_b32 s2, exec_lo, s0
	s_cbranch_execz .LBB4_132
; %bb.117:
	v_dual_mov_b32 v31, v8 :: v_dual_and_b32 v30, 0x7fffffff, v9
	s_mov_b32 s0, exec_lo
	s_delay_alu instid0(VALU_DEP_1)
	v_cmpx_gt_u64_e32 0x43e00001, v[30:31]
	s_xor_b32 s3, exec_lo, s0
	s_cbranch_execz .LBB4_131
; %bb.118:
	v_mov_b32_e32 v20, 0
	s_mov_b32 s4, exec_lo
	v_cmpx_ne_u32_e32 0, v9
	s_cbranch_execz .LBB4_130
; %bb.119:
	v_bfe_u32 v20, v9, 23, 8
	v_or_b32_e32 v31, 0x800000, v7
	s_delay_alu instid0(VALU_DEP_2) | instskip(SKIP_1) | instid1(VALU_DEP_2)
	v_sub_nc_u32_e32 v9, 0x79, v20
	v_cmp_gt_u32_e32 vcc_lo, 0x7a, v20
	v_cndmask_b32_e32 v9, 0, v9, vcc_lo
	v_cmp_eq_u32_e32 vcc_lo, 0, v20
	s_delay_alu instid0(VALU_DEP_2) | instskip(SKIP_1) | instid1(VALU_DEP_2)
	v_cndmask_b32_e64 v30, v9, 0x78, vcc_lo
	v_cndmask_b32_e32 v7, v31, v7, vcc_lo
	v_add_nc_u32_e32 v9, 20, v30
	v_add_nc_u32_e32 v31, 19, v30
	s_delay_alu instid0(VALU_DEP_2) | instskip(NEXT) | instid1(VALU_DEP_1)
	v_lshlrev_b64 v[9:10], v9, -1
	v_not_b32_e32 v33, v9
	s_delay_alu instid0(VALU_DEP_2) | instskip(NEXT) | instid1(VALU_DEP_4)
	v_not_b32_e32 v32, v10
	v_lshlrev_b64 v[9:10], v31, 1
	s_delay_alu instid0(VALU_DEP_3) | instskip(SKIP_1) | instid1(VALU_DEP_4)
	v_and_b32_e32 v31, v7, v33
	v_lshrrev_b64 v[7:8], v30, v[7:8]
	v_and_b32_e32 v32, 0, v32
	s_delay_alu instid0(VALU_DEP_1) | instskip(NEXT) | instid1(VALU_DEP_3)
	v_cmp_eq_u64_e64 s0, v[31:32], v[9:10]
	v_dual_mov_b32 v10, v8 :: v_dual_mov_b32 v9, v7
	s_delay_alu instid0(VALU_DEP_2)
	s_and_saveexec_b32 s5, s0
; %bb.120:
	v_bfe_u32 v9, v7, 20, 1
	s_delay_alu instid0(VALU_DEP_1) | instskip(NEXT) | instid1(VALU_DEP_1)
	v_add_co_u32 v9, s0, v7, v9
	v_add_co_u32 v9, s0, v9, -1
; %bb.121:
	s_or_b32 exec_lo, exec_lo, s5
	v_add_nc_u32_e32 v10, 0xffffff81, v20
	v_lshrrev_b32_e32 v20, 23, v7
	s_delay_alu instid0(VALU_DEP_3) | instskip(SKIP_1) | instid1(VALU_DEP_3)
	v_and_b32_e32 v9, 0xfffff, v9
	s_mov_b32 s0, exec_lo
	v_cndmask_b32_e64 v10, v10, 0xffffff82, vcc_lo
	s_delay_alu instid0(VALU_DEP_2) | instskip(SKIP_1) | instid1(VALU_DEP_3)
	v_add_co_u32 v7, vcc_lo, v9, v7
	v_add_co_ci_u32_e32 v8, vcc_lo, 0, v8, vcc_lo
	v_add3_u32 v10, v30, v10, v20
                                        ; implicit-def: $vgpr9
	s_delay_alu instid0(VALU_DEP_1) | instskip(NEXT) | instid1(VALU_DEP_1)
	v_add_nc_u32_e32 v20, 6, v10
	v_cmpx_ne_u32_e32 0, v20
	s_xor_b32 s0, exec_lo, s0
; %bb.122:
	v_cmp_lt_u64_e32 vcc_lo, 0xffffff, v[7:8]
	v_add_nc_u32_e32 v9, 7, v10
	v_cndmask_b32_e64 v10, 0, 1, vcc_lo
	s_delay_alu instid0(VALU_DEP_2) | instskip(NEXT) | instid1(VALU_DEP_2)
	v_cndmask_b32_e32 v9, v20, v9, vcc_lo
	v_lshrrev_b64 v[7:8], v10, v[7:8]
; %bb.123:
	s_and_not1_saveexec_b32 s0, s0
; %bb.124:
	s_delay_alu instid0(VALU_DEP_1)
	v_bfe_u32 v9, v7, 23, 1
; %bb.125:
	s_or_b32 exec_lo, exec_lo, s0
	s_delay_alu instid0(VALU_DEP_2) | instskip(NEXT) | instid1(VALU_DEP_2)
	v_lshrrev_b64 v[7:8], 20, v[7:8]
	v_cmp_gt_i32_e32 vcc_lo, 16, v9
	v_cmp_ne_u32_e64 s0, 0, v9
                                        ; implicit-def: $vgpr20
	s_delay_alu instid0(VALU_DEP_3) | instskip(NEXT) | instid1(VALU_DEP_1)
	v_dual_cndmask_b32 v8, 0, v8 :: v_dual_cndmask_b32 v7, 7, v7
	v_cmp_ne_u64_e32 vcc_lo, 0, v[7:8]
	s_delay_alu instid0(VALU_DEP_3) | instskip(NEXT) | instid1(SALU_CYCLE_1)
	s_or_b32 s0, s0, vcc_lo
	s_and_saveexec_b32 s5, s0
	s_delay_alu instid0(SALU_CYCLE_1)
	s_xor_b32 s0, exec_lo, s5
; %bb.126:
	v_min_i32_e32 v8, 15, v9
	s_delay_alu instid0(VALU_DEP_1) | instskip(NEXT) | instid1(VALU_DEP_1)
	v_lshl_or_b32 v8, v8, 3, v29
                                        ; implicit-def: $vgpr29
	v_and_or_b32 v20, v7, 7, v8
; %bb.127:
	s_and_not1_saveexec_b32 s0, s0
; %bb.128:
	v_mov_b32_e32 v20, v29
; %bb.129:
	s_or_b32 exec_lo, exec_lo, s0
.LBB4_130:
	s_delay_alu instid0(SALU_CYCLE_1)
	s_or_b32 exec_lo, exec_lo, s4
.LBB4_131:
	s_and_not1_saveexec_b32 s0, s3
	s_delay_alu instid0(SALU_CYCLE_1)
	s_or_b32 exec_lo, exec_lo, s0
                                        ; implicit-def: $vgpr10
                                        ; implicit-def: $vgpr7_vgpr8
.LBB4_132:
	s_and_not1_saveexec_b32 s0, s2
; %bb.133:
	v_cmp_eq_u64_e32 vcc_lo, 0, v[7:8]
	v_or_b32_e32 v9, 0x7f, v10
	s_delay_alu instid0(VALU_DEP_1)
	v_cndmask_b32_e32 v20, v9, v20, vcc_lo
; %bb.134:
	s_or_b32 exec_lo, exec_lo, s0
	v_dual_mul_f32 v7, v14, v25 :: v_dual_mov_b32 v8, 0
	s_mov_b32 s0, 0xc3e00000
	s_delay_alu instid0(VALU_DEP_1) | instid1(SALU_CYCLE_1)
	v_maxmin_f32 v9, v7, s0, 0x43e00000
	s_mov_b32 s0, exec_lo
	s_delay_alu instid0(VALU_DEP_2) | instskip(NEXT) | instid1(VALU_DEP_2)
	v_mov_b32_e32 v31, v8
	v_lshrrev_b32_e32 v10, 24, v9
	v_and_b32_e32 v30, 0x7f800000, v9
	v_and_b32_e32 v7, 0x7fffff, v9
	s_delay_alu instid0(VALU_DEP_3) | instskip(NEXT) | instid1(VALU_DEP_1)
	v_and_b32_e32 v29, 0x80, v10
	v_or_b32_e32 v25, 0x7e, v29
	s_delay_alu instid0(VALU_DEP_4)
	v_cmpx_ne_u64_e32 0x7f800000, v[30:31]
	s_xor_b32 s2, exec_lo, s0
	s_cbranch_execz .LBB4_150
; %bb.135:
	v_dual_mov_b32 v31, v8 :: v_dual_and_b32 v30, 0x7fffffff, v9
	s_mov_b32 s0, exec_lo
	s_delay_alu instid0(VALU_DEP_1)
	v_cmpx_gt_u64_e32 0x43e00001, v[30:31]
	s_xor_b32 s3, exec_lo, s0
	s_cbranch_execz .LBB4_149
; %bb.136:
	v_mov_b32_e32 v25, 0
	s_mov_b32 s4, exec_lo
	v_cmpx_ne_u32_e32 0, v9
	s_cbranch_execz .LBB4_148
; %bb.137:
	v_bfe_u32 v25, v9, 23, 8
	v_or_b32_e32 v31, 0x800000, v7
	s_delay_alu instid0(VALU_DEP_2) | instskip(SKIP_1) | instid1(VALU_DEP_2)
	v_sub_nc_u32_e32 v9, 0x79, v25
	v_cmp_gt_u32_e32 vcc_lo, 0x7a, v25
	v_cndmask_b32_e32 v9, 0, v9, vcc_lo
	v_cmp_eq_u32_e32 vcc_lo, 0, v25
	s_delay_alu instid0(VALU_DEP_2) | instskip(SKIP_1) | instid1(VALU_DEP_2)
	v_cndmask_b32_e64 v30, v9, 0x78, vcc_lo
	v_cndmask_b32_e32 v7, v31, v7, vcc_lo
	v_add_nc_u32_e32 v9, 20, v30
	v_add_nc_u32_e32 v31, 19, v30
	s_delay_alu instid0(VALU_DEP_2) | instskip(NEXT) | instid1(VALU_DEP_1)
	v_lshlrev_b64 v[9:10], v9, -1
	v_not_b32_e32 v33, v9
	s_delay_alu instid0(VALU_DEP_2) | instskip(NEXT) | instid1(VALU_DEP_4)
	v_not_b32_e32 v32, v10
	v_lshlrev_b64 v[9:10], v31, 1
	s_delay_alu instid0(VALU_DEP_3) | instskip(SKIP_1) | instid1(VALU_DEP_4)
	v_and_b32_e32 v31, v7, v33
	v_lshrrev_b64 v[7:8], v30, v[7:8]
	v_and_b32_e32 v32, 0, v32
	s_delay_alu instid0(VALU_DEP_1) | instskip(NEXT) | instid1(VALU_DEP_3)
	v_cmp_eq_u64_e64 s0, v[31:32], v[9:10]
	v_dual_mov_b32 v10, v8 :: v_dual_mov_b32 v9, v7
	s_delay_alu instid0(VALU_DEP_2)
	s_and_saveexec_b32 s5, s0
; %bb.138:
	v_bfe_u32 v9, v7, 20, 1
	s_delay_alu instid0(VALU_DEP_1) | instskip(NEXT) | instid1(VALU_DEP_1)
	v_add_co_u32 v9, s0, v7, v9
	v_add_co_u32 v9, s0, v9, -1
; %bb.139:
	s_or_b32 exec_lo, exec_lo, s5
	v_add_nc_u32_e32 v10, 0xffffff81, v25
	v_lshrrev_b32_e32 v25, 23, v7
	s_delay_alu instid0(VALU_DEP_3) | instskip(SKIP_1) | instid1(VALU_DEP_3)
	v_and_b32_e32 v9, 0xfffff, v9
	s_mov_b32 s0, exec_lo
	v_cndmask_b32_e64 v10, v10, 0xffffff82, vcc_lo
	s_delay_alu instid0(VALU_DEP_2) | instskip(SKIP_1) | instid1(VALU_DEP_3)
	v_add_co_u32 v7, vcc_lo, v9, v7
	v_add_co_ci_u32_e32 v8, vcc_lo, 0, v8, vcc_lo
	v_add3_u32 v10, v30, v10, v25
                                        ; implicit-def: $vgpr9
	s_delay_alu instid0(VALU_DEP_1) | instskip(NEXT) | instid1(VALU_DEP_1)
	v_add_nc_u32_e32 v25, 6, v10
	v_cmpx_ne_u32_e32 0, v25
	s_xor_b32 s0, exec_lo, s0
; %bb.140:
	v_cmp_lt_u64_e32 vcc_lo, 0xffffff, v[7:8]
	v_add_nc_u32_e32 v9, 7, v10
	v_cndmask_b32_e64 v10, 0, 1, vcc_lo
	s_delay_alu instid0(VALU_DEP_2) | instskip(NEXT) | instid1(VALU_DEP_2)
	v_cndmask_b32_e32 v9, v25, v9, vcc_lo
	v_lshrrev_b64 v[7:8], v10, v[7:8]
; %bb.141:
	s_and_not1_saveexec_b32 s0, s0
; %bb.142:
	s_delay_alu instid0(VALU_DEP_1)
	v_bfe_u32 v9, v7, 23, 1
; %bb.143:
	s_or_b32 exec_lo, exec_lo, s0
	s_delay_alu instid0(VALU_DEP_2) | instskip(NEXT) | instid1(VALU_DEP_2)
	v_lshrrev_b64 v[7:8], 20, v[7:8]
	v_cmp_gt_i32_e32 vcc_lo, 16, v9
	v_cmp_ne_u32_e64 s0, 0, v9
                                        ; implicit-def: $vgpr25
	s_delay_alu instid0(VALU_DEP_3) | instskip(NEXT) | instid1(VALU_DEP_1)
	v_dual_cndmask_b32 v8, 0, v8 :: v_dual_cndmask_b32 v7, 7, v7
	v_cmp_ne_u64_e32 vcc_lo, 0, v[7:8]
	s_delay_alu instid0(VALU_DEP_3) | instskip(NEXT) | instid1(SALU_CYCLE_1)
	s_or_b32 s0, s0, vcc_lo
	s_and_saveexec_b32 s5, s0
	s_delay_alu instid0(SALU_CYCLE_1)
	s_xor_b32 s0, exec_lo, s5
; %bb.144:
	v_min_i32_e32 v8, 15, v9
	s_delay_alu instid0(VALU_DEP_1) | instskip(NEXT) | instid1(VALU_DEP_1)
	v_lshl_or_b32 v8, v8, 3, v29
                                        ; implicit-def: $vgpr29
	v_and_or_b32 v25, v7, 7, v8
; %bb.145:
	s_and_not1_saveexec_b32 s0, s0
; %bb.146:
	v_mov_b32_e32 v25, v29
; %bb.147:
	s_or_b32 exec_lo, exec_lo, s0
.LBB4_148:
	s_delay_alu instid0(SALU_CYCLE_1)
	s_or_b32 exec_lo, exec_lo, s4
.LBB4_149:
	s_and_not1_saveexec_b32 s0, s3
	s_delay_alu instid0(SALU_CYCLE_1)
	s_or_b32 exec_lo, exec_lo, s0
                                        ; implicit-def: $vgpr10
                                        ; implicit-def: $vgpr7_vgpr8
.LBB4_150:
	s_and_not1_saveexec_b32 s0, s2
; %bb.151:
	v_cmp_eq_u64_e32 vcc_lo, 0, v[7:8]
	v_or_b32_e32 v9, 0x7f, v10
	s_delay_alu instid0(VALU_DEP_1)
	v_cndmask_b32_e32 v25, v9, v25, vcc_lo
; %bb.152:
	s_or_b32 exec_lo, exec_lo, s0
	v_dual_mul_f32 v7, v14, v27 :: v_dual_mov_b32 v8, 0
	s_mov_b32 s0, 0xc3e00000
	s_delay_alu instid0(VALU_DEP_1) | instid1(SALU_CYCLE_1)
	v_maxmin_f32 v9, v7, s0, 0x43e00000
	s_mov_b32 s0, exec_lo
	s_delay_alu instid0(VALU_DEP_2) | instskip(NEXT) | instid1(VALU_DEP_2)
	v_mov_b32_e32 v31, v8
	v_lshrrev_b32_e32 v10, 24, v9
	v_and_b32_e32 v30, 0x7f800000, v9
	v_and_b32_e32 v7, 0x7fffff, v9
	s_delay_alu instid0(VALU_DEP_3) | instskip(NEXT) | instid1(VALU_DEP_1)
	v_and_b32_e32 v29, 0x80, v10
	v_or_b32_e32 v27, 0x7e, v29
	s_delay_alu instid0(VALU_DEP_4)
	v_cmpx_ne_u64_e32 0x7f800000, v[30:31]
	s_xor_b32 s2, exec_lo, s0
	s_cbranch_execz .LBB4_168
; %bb.153:
	v_dual_mov_b32 v31, v8 :: v_dual_and_b32 v30, 0x7fffffff, v9
	s_mov_b32 s0, exec_lo
	s_delay_alu instid0(VALU_DEP_1)
	v_cmpx_gt_u64_e32 0x43e00001, v[30:31]
	s_xor_b32 s3, exec_lo, s0
	s_cbranch_execz .LBB4_167
; %bb.154:
	v_mov_b32_e32 v27, 0
	s_mov_b32 s4, exec_lo
	v_cmpx_ne_u32_e32 0, v9
	s_cbranch_execz .LBB4_166
; %bb.155:
	v_bfe_u32 v27, v9, 23, 8
	v_or_b32_e32 v31, 0x800000, v7
	s_delay_alu instid0(VALU_DEP_2) | instskip(SKIP_1) | instid1(VALU_DEP_2)
	v_sub_nc_u32_e32 v9, 0x79, v27
	v_cmp_gt_u32_e32 vcc_lo, 0x7a, v27
	v_cndmask_b32_e32 v9, 0, v9, vcc_lo
	v_cmp_eq_u32_e32 vcc_lo, 0, v27
	s_delay_alu instid0(VALU_DEP_2) | instskip(SKIP_1) | instid1(VALU_DEP_2)
	v_cndmask_b32_e64 v30, v9, 0x78, vcc_lo
	v_cndmask_b32_e32 v7, v31, v7, vcc_lo
	v_add_nc_u32_e32 v9, 20, v30
	v_add_nc_u32_e32 v31, 19, v30
	s_delay_alu instid0(VALU_DEP_2) | instskip(NEXT) | instid1(VALU_DEP_1)
	v_lshlrev_b64 v[9:10], v9, -1
	v_not_b32_e32 v33, v9
	s_delay_alu instid0(VALU_DEP_2) | instskip(NEXT) | instid1(VALU_DEP_4)
	v_not_b32_e32 v32, v10
	v_lshlrev_b64 v[9:10], v31, 1
	s_delay_alu instid0(VALU_DEP_3) | instskip(SKIP_1) | instid1(VALU_DEP_4)
	v_and_b32_e32 v31, v7, v33
	v_lshrrev_b64 v[7:8], v30, v[7:8]
	v_and_b32_e32 v32, 0, v32
	s_delay_alu instid0(VALU_DEP_1) | instskip(NEXT) | instid1(VALU_DEP_3)
	v_cmp_eq_u64_e64 s0, v[31:32], v[9:10]
	v_dual_mov_b32 v10, v8 :: v_dual_mov_b32 v9, v7
	s_delay_alu instid0(VALU_DEP_2)
	s_and_saveexec_b32 s5, s0
; %bb.156:
	v_bfe_u32 v9, v7, 20, 1
	s_delay_alu instid0(VALU_DEP_1) | instskip(NEXT) | instid1(VALU_DEP_1)
	v_add_co_u32 v9, s0, v7, v9
	v_add_co_u32 v9, s0, v9, -1
; %bb.157:
	s_or_b32 exec_lo, exec_lo, s5
	v_add_nc_u32_e32 v10, 0xffffff81, v27
	v_lshrrev_b32_e32 v27, 23, v7
	s_delay_alu instid0(VALU_DEP_3) | instskip(SKIP_1) | instid1(VALU_DEP_3)
	v_and_b32_e32 v9, 0xfffff, v9
	s_mov_b32 s0, exec_lo
	v_cndmask_b32_e64 v10, v10, 0xffffff82, vcc_lo
	s_delay_alu instid0(VALU_DEP_2) | instskip(SKIP_1) | instid1(VALU_DEP_3)
	v_add_co_u32 v7, vcc_lo, v9, v7
	v_add_co_ci_u32_e32 v8, vcc_lo, 0, v8, vcc_lo
	v_add3_u32 v10, v30, v10, v27
                                        ; implicit-def: $vgpr9
	s_delay_alu instid0(VALU_DEP_1) | instskip(NEXT) | instid1(VALU_DEP_1)
	v_add_nc_u32_e32 v27, 6, v10
	v_cmpx_ne_u32_e32 0, v27
	s_xor_b32 s0, exec_lo, s0
; %bb.158:
	v_cmp_lt_u64_e32 vcc_lo, 0xffffff, v[7:8]
	v_add_nc_u32_e32 v9, 7, v10
	v_cndmask_b32_e64 v10, 0, 1, vcc_lo
	s_delay_alu instid0(VALU_DEP_2) | instskip(NEXT) | instid1(VALU_DEP_2)
	v_cndmask_b32_e32 v9, v27, v9, vcc_lo
	v_lshrrev_b64 v[7:8], v10, v[7:8]
; %bb.159:
	s_and_not1_saveexec_b32 s0, s0
; %bb.160:
	s_delay_alu instid0(VALU_DEP_1)
	v_bfe_u32 v9, v7, 23, 1
; %bb.161:
	s_or_b32 exec_lo, exec_lo, s0
	s_delay_alu instid0(VALU_DEP_2) | instskip(NEXT) | instid1(VALU_DEP_2)
	v_lshrrev_b64 v[7:8], 20, v[7:8]
	v_cmp_gt_i32_e32 vcc_lo, 16, v9
	v_cmp_ne_u32_e64 s0, 0, v9
                                        ; implicit-def: $vgpr27
	s_delay_alu instid0(VALU_DEP_3) | instskip(NEXT) | instid1(VALU_DEP_1)
	v_dual_cndmask_b32 v8, 0, v8 :: v_dual_cndmask_b32 v7, 7, v7
	v_cmp_ne_u64_e32 vcc_lo, 0, v[7:8]
	s_delay_alu instid0(VALU_DEP_3) | instskip(NEXT) | instid1(SALU_CYCLE_1)
	s_or_b32 s0, s0, vcc_lo
	s_and_saveexec_b32 s5, s0
	s_delay_alu instid0(SALU_CYCLE_1)
	s_xor_b32 s0, exec_lo, s5
; %bb.162:
	v_min_i32_e32 v8, 15, v9
	s_delay_alu instid0(VALU_DEP_1) | instskip(NEXT) | instid1(VALU_DEP_1)
	v_lshl_or_b32 v8, v8, 3, v29
                                        ; implicit-def: $vgpr29
	v_and_or_b32 v27, v7, 7, v8
; %bb.163:
	s_and_not1_saveexec_b32 s0, s0
; %bb.164:
	v_mov_b32_e32 v27, v29
; %bb.165:
	s_or_b32 exec_lo, exec_lo, s0
.LBB4_166:
	s_delay_alu instid0(SALU_CYCLE_1)
	s_or_b32 exec_lo, exec_lo, s4
.LBB4_167:
	s_and_not1_saveexec_b32 s0, s3
	s_delay_alu instid0(SALU_CYCLE_1)
	s_or_b32 exec_lo, exec_lo, s0
                                        ; implicit-def: $vgpr10
                                        ; implicit-def: $vgpr7_vgpr8
.LBB4_168:
	s_and_not1_saveexec_b32 s0, s2
; %bb.169:
	v_cmp_eq_u64_e32 vcc_lo, 0, v[7:8]
	v_or_b32_e32 v9, 0x7f, v10
	s_delay_alu instid0(VALU_DEP_1)
	v_cndmask_b32_e32 v27, v9, v27, vcc_lo
; %bb.170:
	s_or_b32 exec_lo, exec_lo, s0
	v_dual_mul_f32 v7, v14, v28 :: v_dual_mov_b32 v8, 0
	s_mov_b32 s0, 0xc3e00000
	s_delay_alu instid0(VALU_DEP_1) | instid1(SALU_CYCLE_1)
	v_maxmin_f32 v9, v7, s0, 0x43e00000
	s_mov_b32 s0, exec_lo
	s_delay_alu instid0(VALU_DEP_2) | instskip(NEXT) | instid1(VALU_DEP_2)
	v_mov_b32_e32 v31, v8
	v_lshrrev_b32_e32 v10, 24, v9
	v_and_b32_e32 v30, 0x7f800000, v9
	v_and_b32_e32 v7, 0x7fffff, v9
	s_delay_alu instid0(VALU_DEP_3) | instskip(NEXT) | instid1(VALU_DEP_1)
	v_and_b32_e32 v29, 0x80, v10
	v_or_b32_e32 v28, 0x7e, v29
	s_delay_alu instid0(VALU_DEP_4)
	v_cmpx_ne_u64_e32 0x7f800000, v[30:31]
	s_xor_b32 s2, exec_lo, s0
	s_cbranch_execz .LBB4_186
; %bb.171:
	v_dual_mov_b32 v31, v8 :: v_dual_and_b32 v30, 0x7fffffff, v9
	s_mov_b32 s0, exec_lo
	s_delay_alu instid0(VALU_DEP_1)
	v_cmpx_gt_u64_e32 0x43e00001, v[30:31]
	s_xor_b32 s3, exec_lo, s0
	s_cbranch_execz .LBB4_185
; %bb.172:
	v_mov_b32_e32 v28, 0
	s_mov_b32 s4, exec_lo
	v_cmpx_ne_u32_e32 0, v9
	s_cbranch_execz .LBB4_184
; %bb.173:
	v_bfe_u32 v28, v9, 23, 8
	v_or_b32_e32 v31, 0x800000, v7
	s_delay_alu instid0(VALU_DEP_2) | instskip(SKIP_1) | instid1(VALU_DEP_2)
	v_sub_nc_u32_e32 v9, 0x79, v28
	v_cmp_gt_u32_e32 vcc_lo, 0x7a, v28
	v_cndmask_b32_e32 v9, 0, v9, vcc_lo
	v_cmp_eq_u32_e32 vcc_lo, 0, v28
	s_delay_alu instid0(VALU_DEP_2) | instskip(SKIP_1) | instid1(VALU_DEP_2)
	v_cndmask_b32_e64 v30, v9, 0x78, vcc_lo
	v_cndmask_b32_e32 v7, v31, v7, vcc_lo
	v_add_nc_u32_e32 v9, 20, v30
	v_add_nc_u32_e32 v31, 19, v30
	s_delay_alu instid0(VALU_DEP_2) | instskip(NEXT) | instid1(VALU_DEP_1)
	v_lshlrev_b64 v[9:10], v9, -1
	v_not_b32_e32 v33, v9
	s_delay_alu instid0(VALU_DEP_2) | instskip(NEXT) | instid1(VALU_DEP_4)
	v_not_b32_e32 v32, v10
	v_lshlrev_b64 v[9:10], v31, 1
	s_delay_alu instid0(VALU_DEP_3) | instskip(SKIP_1) | instid1(VALU_DEP_4)
	v_and_b32_e32 v31, v7, v33
	v_lshrrev_b64 v[7:8], v30, v[7:8]
	v_and_b32_e32 v32, 0, v32
	s_delay_alu instid0(VALU_DEP_1) | instskip(NEXT) | instid1(VALU_DEP_3)
	v_cmp_eq_u64_e64 s0, v[31:32], v[9:10]
	v_dual_mov_b32 v10, v8 :: v_dual_mov_b32 v9, v7
	s_delay_alu instid0(VALU_DEP_2)
	s_and_saveexec_b32 s5, s0
; %bb.174:
	v_bfe_u32 v9, v7, 20, 1
	s_delay_alu instid0(VALU_DEP_1) | instskip(NEXT) | instid1(VALU_DEP_1)
	v_add_co_u32 v9, s0, v7, v9
	v_add_co_u32 v9, s0, v9, -1
; %bb.175:
	s_or_b32 exec_lo, exec_lo, s5
	v_add_nc_u32_e32 v10, 0xffffff81, v28
	v_lshrrev_b32_e32 v28, 23, v7
	s_delay_alu instid0(VALU_DEP_3) | instskip(SKIP_1) | instid1(VALU_DEP_3)
	v_and_b32_e32 v9, 0xfffff, v9
	s_mov_b32 s0, exec_lo
	v_cndmask_b32_e64 v10, v10, 0xffffff82, vcc_lo
	s_delay_alu instid0(VALU_DEP_2) | instskip(SKIP_1) | instid1(VALU_DEP_3)
	v_add_co_u32 v7, vcc_lo, v9, v7
	v_add_co_ci_u32_e32 v8, vcc_lo, 0, v8, vcc_lo
	v_add3_u32 v10, v30, v10, v28
                                        ; implicit-def: $vgpr9
	s_delay_alu instid0(VALU_DEP_1) | instskip(NEXT) | instid1(VALU_DEP_1)
	v_add_nc_u32_e32 v28, 6, v10
	v_cmpx_ne_u32_e32 0, v28
	s_xor_b32 s0, exec_lo, s0
; %bb.176:
	v_cmp_lt_u64_e32 vcc_lo, 0xffffff, v[7:8]
	v_add_nc_u32_e32 v9, 7, v10
	v_cndmask_b32_e64 v10, 0, 1, vcc_lo
	s_delay_alu instid0(VALU_DEP_2) | instskip(NEXT) | instid1(VALU_DEP_2)
	v_cndmask_b32_e32 v9, v28, v9, vcc_lo
	v_lshrrev_b64 v[7:8], v10, v[7:8]
; %bb.177:
	s_and_not1_saveexec_b32 s0, s0
; %bb.178:
	s_delay_alu instid0(VALU_DEP_1)
	v_bfe_u32 v9, v7, 23, 1
; %bb.179:
	s_or_b32 exec_lo, exec_lo, s0
	s_delay_alu instid0(VALU_DEP_2) | instskip(NEXT) | instid1(VALU_DEP_2)
	v_lshrrev_b64 v[7:8], 20, v[7:8]
	v_cmp_gt_i32_e32 vcc_lo, 16, v9
	v_cmp_ne_u32_e64 s0, 0, v9
                                        ; implicit-def: $vgpr28
	s_delay_alu instid0(VALU_DEP_3) | instskip(NEXT) | instid1(VALU_DEP_1)
	v_dual_cndmask_b32 v8, 0, v8 :: v_dual_cndmask_b32 v7, 7, v7
	v_cmp_ne_u64_e32 vcc_lo, 0, v[7:8]
	s_delay_alu instid0(VALU_DEP_3) | instskip(NEXT) | instid1(SALU_CYCLE_1)
	s_or_b32 s0, s0, vcc_lo
	s_and_saveexec_b32 s5, s0
	s_delay_alu instid0(SALU_CYCLE_1)
	s_xor_b32 s0, exec_lo, s5
; %bb.180:
	v_min_i32_e32 v8, 15, v9
	s_delay_alu instid0(VALU_DEP_1) | instskip(NEXT) | instid1(VALU_DEP_1)
	v_lshl_or_b32 v8, v8, 3, v29
                                        ; implicit-def: $vgpr29
	v_and_or_b32 v28, v7, 7, v8
; %bb.181:
	s_and_not1_saveexec_b32 s0, s0
; %bb.182:
	v_mov_b32_e32 v28, v29
; %bb.183:
	s_or_b32 exec_lo, exec_lo, s0
.LBB4_184:
	s_delay_alu instid0(SALU_CYCLE_1)
	s_or_b32 exec_lo, exec_lo, s4
.LBB4_185:
	s_and_not1_saveexec_b32 s0, s3
	s_delay_alu instid0(SALU_CYCLE_1)
	s_or_b32 exec_lo, exec_lo, s0
                                        ; implicit-def: $vgpr10
                                        ; implicit-def: $vgpr7_vgpr8
.LBB4_186:
	s_and_not1_saveexec_b32 s0, s2
; %bb.187:
	v_cmp_eq_u64_e32 vcc_lo, 0, v[7:8]
	v_or_b32_e32 v9, 0x7f, v10
	s_delay_alu instid0(VALU_DEP_1)
	v_cndmask_b32_e32 v28, v9, v28, vcc_lo
; %bb.188:
	s_or_b32 exec_lo, exec_lo, s0
	v_dual_mul_f32 v7, v14, v26 :: v_dual_mov_b32 v8, 0
	s_mov_b32 s0, 0xc3e00000
	s_delay_alu instid0(VALU_DEP_1) | instid1(SALU_CYCLE_1)
	v_maxmin_f32 v9, v7, s0, 0x43e00000
	s_mov_b32 s0, exec_lo
	s_delay_alu instid0(VALU_DEP_2) | instskip(NEXT) | instid1(VALU_DEP_2)
	v_mov_b32_e32 v31, v8
	v_lshrrev_b32_e32 v10, 24, v9
	v_and_b32_e32 v30, 0x7f800000, v9
	v_and_b32_e32 v7, 0x7fffff, v9
	s_delay_alu instid0(VALU_DEP_3) | instskip(NEXT) | instid1(VALU_DEP_1)
	v_and_b32_e32 v29, 0x80, v10
	v_or_b32_e32 v26, 0x7e, v29
	s_delay_alu instid0(VALU_DEP_4)
	v_cmpx_ne_u64_e32 0x7f800000, v[30:31]
	s_xor_b32 s2, exec_lo, s0
	s_cbranch_execz .LBB4_204
; %bb.189:
	v_dual_mov_b32 v31, v8 :: v_dual_and_b32 v30, 0x7fffffff, v9
	s_mov_b32 s0, exec_lo
	s_delay_alu instid0(VALU_DEP_1)
	v_cmpx_gt_u64_e32 0x43e00001, v[30:31]
	s_xor_b32 s3, exec_lo, s0
	s_cbranch_execz .LBB4_203
; %bb.190:
	v_mov_b32_e32 v26, 0
	s_mov_b32 s4, exec_lo
	v_cmpx_ne_u32_e32 0, v9
	s_cbranch_execz .LBB4_202
; %bb.191:
	v_bfe_u32 v26, v9, 23, 8
	v_or_b32_e32 v31, 0x800000, v7
	s_delay_alu instid0(VALU_DEP_2) | instskip(SKIP_1) | instid1(VALU_DEP_2)
	v_sub_nc_u32_e32 v9, 0x79, v26
	v_cmp_gt_u32_e32 vcc_lo, 0x7a, v26
	v_cndmask_b32_e32 v9, 0, v9, vcc_lo
	v_cmp_eq_u32_e32 vcc_lo, 0, v26
	s_delay_alu instid0(VALU_DEP_2) | instskip(SKIP_1) | instid1(VALU_DEP_2)
	v_cndmask_b32_e64 v30, v9, 0x78, vcc_lo
	v_cndmask_b32_e32 v7, v31, v7, vcc_lo
	v_add_nc_u32_e32 v9, 20, v30
	v_add_nc_u32_e32 v31, 19, v30
	s_delay_alu instid0(VALU_DEP_2) | instskip(NEXT) | instid1(VALU_DEP_1)
	v_lshlrev_b64 v[9:10], v9, -1
	v_not_b32_e32 v33, v9
	s_delay_alu instid0(VALU_DEP_2) | instskip(NEXT) | instid1(VALU_DEP_4)
	v_not_b32_e32 v32, v10
	v_lshlrev_b64 v[9:10], v31, 1
	s_delay_alu instid0(VALU_DEP_3) | instskip(SKIP_1) | instid1(VALU_DEP_4)
	v_and_b32_e32 v31, v7, v33
	v_lshrrev_b64 v[7:8], v30, v[7:8]
	v_and_b32_e32 v32, 0, v32
	s_delay_alu instid0(VALU_DEP_1) | instskip(NEXT) | instid1(VALU_DEP_3)
	v_cmp_eq_u64_e64 s0, v[31:32], v[9:10]
	v_dual_mov_b32 v10, v8 :: v_dual_mov_b32 v9, v7
	s_delay_alu instid0(VALU_DEP_2)
	s_and_saveexec_b32 s5, s0
; %bb.192:
	v_bfe_u32 v9, v7, 20, 1
	s_delay_alu instid0(VALU_DEP_1) | instskip(NEXT) | instid1(VALU_DEP_1)
	v_add_co_u32 v9, s0, v7, v9
	v_add_co_u32 v9, s0, v9, -1
; %bb.193:
	s_or_b32 exec_lo, exec_lo, s5
	v_add_nc_u32_e32 v10, 0xffffff81, v26
	v_lshrrev_b32_e32 v26, 23, v7
	s_delay_alu instid0(VALU_DEP_3) | instskip(SKIP_1) | instid1(VALU_DEP_3)
	v_and_b32_e32 v9, 0xfffff, v9
	s_mov_b32 s0, exec_lo
	v_cndmask_b32_e64 v10, v10, 0xffffff82, vcc_lo
	s_delay_alu instid0(VALU_DEP_2) | instskip(SKIP_1) | instid1(VALU_DEP_3)
	v_add_co_u32 v7, vcc_lo, v9, v7
	v_add_co_ci_u32_e32 v8, vcc_lo, 0, v8, vcc_lo
	v_add3_u32 v10, v30, v10, v26
                                        ; implicit-def: $vgpr9
	s_delay_alu instid0(VALU_DEP_1) | instskip(NEXT) | instid1(VALU_DEP_1)
	v_add_nc_u32_e32 v26, 6, v10
	v_cmpx_ne_u32_e32 0, v26
	s_xor_b32 s0, exec_lo, s0
; %bb.194:
	v_cmp_lt_u64_e32 vcc_lo, 0xffffff, v[7:8]
	v_add_nc_u32_e32 v9, 7, v10
	v_cndmask_b32_e64 v10, 0, 1, vcc_lo
	s_delay_alu instid0(VALU_DEP_2) | instskip(NEXT) | instid1(VALU_DEP_2)
	v_cndmask_b32_e32 v9, v26, v9, vcc_lo
	v_lshrrev_b64 v[7:8], v10, v[7:8]
; %bb.195:
	s_and_not1_saveexec_b32 s0, s0
; %bb.196:
	s_delay_alu instid0(VALU_DEP_1)
	v_bfe_u32 v9, v7, 23, 1
; %bb.197:
	s_or_b32 exec_lo, exec_lo, s0
	s_delay_alu instid0(VALU_DEP_2) | instskip(NEXT) | instid1(VALU_DEP_2)
	v_lshrrev_b64 v[7:8], 20, v[7:8]
	v_cmp_gt_i32_e32 vcc_lo, 16, v9
	v_cmp_ne_u32_e64 s0, 0, v9
                                        ; implicit-def: $vgpr26
	s_delay_alu instid0(VALU_DEP_3) | instskip(NEXT) | instid1(VALU_DEP_1)
	v_dual_cndmask_b32 v8, 0, v8 :: v_dual_cndmask_b32 v7, 7, v7
	v_cmp_ne_u64_e32 vcc_lo, 0, v[7:8]
	s_delay_alu instid0(VALU_DEP_3) | instskip(NEXT) | instid1(SALU_CYCLE_1)
	s_or_b32 s0, s0, vcc_lo
	s_and_saveexec_b32 s5, s0
	s_delay_alu instid0(SALU_CYCLE_1)
	s_xor_b32 s0, exec_lo, s5
; %bb.198:
	v_min_i32_e32 v8, 15, v9
	s_delay_alu instid0(VALU_DEP_1) | instskip(NEXT) | instid1(VALU_DEP_1)
	v_lshl_or_b32 v8, v8, 3, v29
                                        ; implicit-def: $vgpr29
	v_and_or_b32 v26, v7, 7, v8
; %bb.199:
	s_and_not1_saveexec_b32 s0, s0
; %bb.200:
	v_mov_b32_e32 v26, v29
; %bb.201:
	s_or_b32 exec_lo, exec_lo, s0
.LBB4_202:
	s_delay_alu instid0(SALU_CYCLE_1)
	s_or_b32 exec_lo, exec_lo, s4
.LBB4_203:
	s_and_not1_saveexec_b32 s0, s3
	s_delay_alu instid0(SALU_CYCLE_1)
	s_or_b32 exec_lo, exec_lo, s0
                                        ; implicit-def: $vgpr10
                                        ; implicit-def: $vgpr7_vgpr8
.LBB4_204:
	s_and_not1_saveexec_b32 s0, s2
; %bb.205:
	v_cmp_eq_u64_e32 vcc_lo, 0, v[7:8]
	v_or_b32_e32 v9, 0x7f, v10
	s_delay_alu instid0(VALU_DEP_1)
	v_cndmask_b32_e32 v26, v9, v26, vcc_lo
; %bb.206:
	s_or_b32 exec_lo, exec_lo, s0
	v_dual_mul_f32 v7, v14, v24 :: v_dual_mov_b32 v8, 0
	s_mov_b32 s0, 0xc3e00000
	s_delay_alu instid0(VALU_DEP_1) | instid1(SALU_CYCLE_1)
	v_maxmin_f32 v9, v7, s0, 0x43e00000
	s_mov_b32 s0, exec_lo
	s_delay_alu instid0(VALU_DEP_2) | instskip(NEXT) | instid1(VALU_DEP_2)
	v_mov_b32_e32 v31, v8
	v_lshrrev_b32_e32 v10, 24, v9
	v_and_b32_e32 v30, 0x7f800000, v9
	v_and_b32_e32 v7, 0x7fffff, v9
	s_delay_alu instid0(VALU_DEP_3) | instskip(NEXT) | instid1(VALU_DEP_1)
	v_and_b32_e32 v29, 0x80, v10
	v_or_b32_e32 v24, 0x7e, v29
	s_delay_alu instid0(VALU_DEP_4)
	v_cmpx_ne_u64_e32 0x7f800000, v[30:31]
	s_xor_b32 s2, exec_lo, s0
	s_cbranch_execz .LBB4_222
; %bb.207:
	v_dual_mov_b32 v31, v8 :: v_dual_and_b32 v30, 0x7fffffff, v9
	s_mov_b32 s0, exec_lo
	s_delay_alu instid0(VALU_DEP_1)
	v_cmpx_gt_u64_e32 0x43e00001, v[30:31]
	s_xor_b32 s3, exec_lo, s0
	s_cbranch_execz .LBB4_221
; %bb.208:
	v_mov_b32_e32 v24, 0
	s_mov_b32 s4, exec_lo
	v_cmpx_ne_u32_e32 0, v9
	s_cbranch_execz .LBB4_220
; %bb.209:
	v_bfe_u32 v24, v9, 23, 8
	v_or_b32_e32 v31, 0x800000, v7
	s_delay_alu instid0(VALU_DEP_2) | instskip(SKIP_1) | instid1(VALU_DEP_2)
	v_sub_nc_u32_e32 v9, 0x79, v24
	v_cmp_gt_u32_e32 vcc_lo, 0x7a, v24
	v_cndmask_b32_e32 v9, 0, v9, vcc_lo
	v_cmp_eq_u32_e32 vcc_lo, 0, v24
	s_delay_alu instid0(VALU_DEP_2) | instskip(SKIP_1) | instid1(VALU_DEP_2)
	v_cndmask_b32_e64 v30, v9, 0x78, vcc_lo
	v_cndmask_b32_e32 v7, v31, v7, vcc_lo
	v_add_nc_u32_e32 v9, 20, v30
	v_add_nc_u32_e32 v31, 19, v30
	s_delay_alu instid0(VALU_DEP_2) | instskip(NEXT) | instid1(VALU_DEP_1)
	v_lshlrev_b64 v[9:10], v9, -1
	v_not_b32_e32 v33, v9
	s_delay_alu instid0(VALU_DEP_2) | instskip(NEXT) | instid1(VALU_DEP_4)
	v_not_b32_e32 v32, v10
	v_lshlrev_b64 v[9:10], v31, 1
	s_delay_alu instid0(VALU_DEP_3) | instskip(SKIP_1) | instid1(VALU_DEP_4)
	v_and_b32_e32 v31, v7, v33
	v_lshrrev_b64 v[7:8], v30, v[7:8]
	v_and_b32_e32 v32, 0, v32
	s_delay_alu instid0(VALU_DEP_1) | instskip(NEXT) | instid1(VALU_DEP_3)
	v_cmp_eq_u64_e64 s0, v[31:32], v[9:10]
	v_dual_mov_b32 v10, v8 :: v_dual_mov_b32 v9, v7
	s_delay_alu instid0(VALU_DEP_2)
	s_and_saveexec_b32 s5, s0
; %bb.210:
	v_bfe_u32 v9, v7, 20, 1
	s_delay_alu instid0(VALU_DEP_1) | instskip(NEXT) | instid1(VALU_DEP_1)
	v_add_co_u32 v9, s0, v7, v9
	v_add_co_u32 v9, s0, v9, -1
; %bb.211:
	s_or_b32 exec_lo, exec_lo, s5
	v_add_nc_u32_e32 v10, 0xffffff81, v24
	v_lshrrev_b32_e32 v24, 23, v7
	s_delay_alu instid0(VALU_DEP_3) | instskip(SKIP_1) | instid1(VALU_DEP_3)
	v_and_b32_e32 v9, 0xfffff, v9
	s_mov_b32 s0, exec_lo
	v_cndmask_b32_e64 v10, v10, 0xffffff82, vcc_lo
	s_delay_alu instid0(VALU_DEP_2) | instskip(SKIP_1) | instid1(VALU_DEP_3)
	v_add_co_u32 v7, vcc_lo, v9, v7
	v_add_co_ci_u32_e32 v8, vcc_lo, 0, v8, vcc_lo
	v_add3_u32 v10, v30, v10, v24
                                        ; implicit-def: $vgpr9
	s_delay_alu instid0(VALU_DEP_1) | instskip(NEXT) | instid1(VALU_DEP_1)
	v_add_nc_u32_e32 v24, 6, v10
	v_cmpx_ne_u32_e32 0, v24
	s_xor_b32 s0, exec_lo, s0
; %bb.212:
	v_cmp_lt_u64_e32 vcc_lo, 0xffffff, v[7:8]
	v_add_nc_u32_e32 v9, 7, v10
	v_cndmask_b32_e64 v10, 0, 1, vcc_lo
	s_delay_alu instid0(VALU_DEP_2) | instskip(NEXT) | instid1(VALU_DEP_2)
	v_cndmask_b32_e32 v9, v24, v9, vcc_lo
	v_lshrrev_b64 v[7:8], v10, v[7:8]
; %bb.213:
	s_and_not1_saveexec_b32 s0, s0
; %bb.214:
	s_delay_alu instid0(VALU_DEP_1)
	v_bfe_u32 v9, v7, 23, 1
; %bb.215:
	s_or_b32 exec_lo, exec_lo, s0
	s_delay_alu instid0(VALU_DEP_2) | instskip(NEXT) | instid1(VALU_DEP_2)
	v_lshrrev_b64 v[7:8], 20, v[7:8]
	v_cmp_gt_i32_e32 vcc_lo, 16, v9
	v_cmp_ne_u32_e64 s0, 0, v9
                                        ; implicit-def: $vgpr24
	s_delay_alu instid0(VALU_DEP_3) | instskip(NEXT) | instid1(VALU_DEP_1)
	v_dual_cndmask_b32 v8, 0, v8 :: v_dual_cndmask_b32 v7, 7, v7
	v_cmp_ne_u64_e32 vcc_lo, 0, v[7:8]
	s_delay_alu instid0(VALU_DEP_3) | instskip(NEXT) | instid1(SALU_CYCLE_1)
	s_or_b32 s0, s0, vcc_lo
	s_and_saveexec_b32 s5, s0
	s_delay_alu instid0(SALU_CYCLE_1)
	s_xor_b32 s0, exec_lo, s5
; %bb.216:
	v_min_i32_e32 v8, 15, v9
	s_delay_alu instid0(VALU_DEP_1) | instskip(NEXT) | instid1(VALU_DEP_1)
	v_lshl_or_b32 v8, v8, 3, v29
                                        ; implicit-def: $vgpr29
	v_and_or_b32 v24, v7, 7, v8
; %bb.217:
	s_and_not1_saveexec_b32 s0, s0
; %bb.218:
	v_mov_b32_e32 v24, v29
; %bb.219:
	s_or_b32 exec_lo, exec_lo, s0
.LBB4_220:
	s_delay_alu instid0(SALU_CYCLE_1)
	s_or_b32 exec_lo, exec_lo, s4
.LBB4_221:
	s_and_not1_saveexec_b32 s0, s3
	s_delay_alu instid0(SALU_CYCLE_1)
	s_or_b32 exec_lo, exec_lo, s0
                                        ; implicit-def: $vgpr10
                                        ; implicit-def: $vgpr7_vgpr8
.LBB4_222:
	s_and_not1_saveexec_b32 s0, s2
; %bb.223:
	v_cmp_eq_u64_e32 vcc_lo, 0, v[7:8]
	v_or_b32_e32 v9, 0x7f, v10
	s_delay_alu instid0(VALU_DEP_1)
	v_cndmask_b32_e32 v24, v9, v24, vcc_lo
; %bb.224:
	s_or_b32 exec_lo, exec_lo, s0
	v_dual_mul_f32 v7, v14, v23 :: v_dual_mov_b32 v8, 0
	s_mov_b32 s0, 0xc3e00000
	s_delay_alu instid0(VALU_DEP_1) | instid1(SALU_CYCLE_1)
	v_maxmin_f32 v9, v7, s0, 0x43e00000
	s_mov_b32 s0, exec_lo
	s_delay_alu instid0(VALU_DEP_2) | instskip(NEXT) | instid1(VALU_DEP_2)
	v_mov_b32_e32 v31, v8
	v_lshrrev_b32_e32 v10, 24, v9
	v_and_b32_e32 v30, 0x7f800000, v9
	v_and_b32_e32 v7, 0x7fffff, v9
	s_delay_alu instid0(VALU_DEP_3) | instskip(NEXT) | instid1(VALU_DEP_1)
	v_and_b32_e32 v29, 0x80, v10
	v_or_b32_e32 v23, 0x7e, v29
	s_delay_alu instid0(VALU_DEP_4)
	v_cmpx_ne_u64_e32 0x7f800000, v[30:31]
	s_xor_b32 s2, exec_lo, s0
	s_cbranch_execz .LBB4_240
; %bb.225:
	v_dual_mov_b32 v31, v8 :: v_dual_and_b32 v30, 0x7fffffff, v9
	s_mov_b32 s0, exec_lo
	s_delay_alu instid0(VALU_DEP_1)
	v_cmpx_gt_u64_e32 0x43e00001, v[30:31]
	s_xor_b32 s3, exec_lo, s0
	s_cbranch_execz .LBB4_239
; %bb.226:
	v_mov_b32_e32 v23, 0
	s_mov_b32 s4, exec_lo
	v_cmpx_ne_u32_e32 0, v9
	s_cbranch_execz .LBB4_238
; %bb.227:
	v_bfe_u32 v23, v9, 23, 8
	v_or_b32_e32 v31, 0x800000, v7
	s_delay_alu instid0(VALU_DEP_2) | instskip(SKIP_1) | instid1(VALU_DEP_2)
	v_sub_nc_u32_e32 v9, 0x79, v23
	v_cmp_gt_u32_e32 vcc_lo, 0x7a, v23
	v_cndmask_b32_e32 v9, 0, v9, vcc_lo
	v_cmp_eq_u32_e32 vcc_lo, 0, v23
	s_delay_alu instid0(VALU_DEP_2) | instskip(SKIP_1) | instid1(VALU_DEP_2)
	v_cndmask_b32_e64 v30, v9, 0x78, vcc_lo
	v_cndmask_b32_e32 v7, v31, v7, vcc_lo
	v_add_nc_u32_e32 v9, 20, v30
	v_add_nc_u32_e32 v31, 19, v30
	s_delay_alu instid0(VALU_DEP_2) | instskip(NEXT) | instid1(VALU_DEP_1)
	v_lshlrev_b64 v[9:10], v9, -1
	v_not_b32_e32 v33, v9
	s_delay_alu instid0(VALU_DEP_2) | instskip(NEXT) | instid1(VALU_DEP_4)
	v_not_b32_e32 v32, v10
	v_lshlrev_b64 v[9:10], v31, 1
	s_delay_alu instid0(VALU_DEP_3) | instskip(SKIP_1) | instid1(VALU_DEP_4)
	v_and_b32_e32 v31, v7, v33
	v_lshrrev_b64 v[7:8], v30, v[7:8]
	v_and_b32_e32 v32, 0, v32
	s_delay_alu instid0(VALU_DEP_1) | instskip(NEXT) | instid1(VALU_DEP_3)
	v_cmp_eq_u64_e64 s0, v[31:32], v[9:10]
	v_dual_mov_b32 v10, v8 :: v_dual_mov_b32 v9, v7
	s_delay_alu instid0(VALU_DEP_2)
	s_and_saveexec_b32 s5, s0
; %bb.228:
	v_bfe_u32 v9, v7, 20, 1
	s_delay_alu instid0(VALU_DEP_1) | instskip(NEXT) | instid1(VALU_DEP_1)
	v_add_co_u32 v9, s0, v7, v9
	v_add_co_u32 v9, s0, v9, -1
; %bb.229:
	s_or_b32 exec_lo, exec_lo, s5
	v_add_nc_u32_e32 v10, 0xffffff81, v23
	v_lshrrev_b32_e32 v23, 23, v7
	s_delay_alu instid0(VALU_DEP_3) | instskip(SKIP_1) | instid1(VALU_DEP_3)
	v_and_b32_e32 v9, 0xfffff, v9
	s_mov_b32 s0, exec_lo
	v_cndmask_b32_e64 v10, v10, 0xffffff82, vcc_lo
	s_delay_alu instid0(VALU_DEP_2) | instskip(SKIP_1) | instid1(VALU_DEP_3)
	v_add_co_u32 v7, vcc_lo, v9, v7
	v_add_co_ci_u32_e32 v8, vcc_lo, 0, v8, vcc_lo
	v_add3_u32 v10, v30, v10, v23
                                        ; implicit-def: $vgpr9
	s_delay_alu instid0(VALU_DEP_1) | instskip(NEXT) | instid1(VALU_DEP_1)
	v_add_nc_u32_e32 v23, 6, v10
	v_cmpx_ne_u32_e32 0, v23
	s_xor_b32 s0, exec_lo, s0
; %bb.230:
	v_cmp_lt_u64_e32 vcc_lo, 0xffffff, v[7:8]
	v_add_nc_u32_e32 v9, 7, v10
	v_cndmask_b32_e64 v10, 0, 1, vcc_lo
	s_delay_alu instid0(VALU_DEP_2) | instskip(NEXT) | instid1(VALU_DEP_2)
	v_cndmask_b32_e32 v9, v23, v9, vcc_lo
	v_lshrrev_b64 v[7:8], v10, v[7:8]
; %bb.231:
	s_and_not1_saveexec_b32 s0, s0
; %bb.232:
	s_delay_alu instid0(VALU_DEP_1)
	v_bfe_u32 v9, v7, 23, 1
; %bb.233:
	s_or_b32 exec_lo, exec_lo, s0
	s_delay_alu instid0(VALU_DEP_2) | instskip(NEXT) | instid1(VALU_DEP_2)
	v_lshrrev_b64 v[7:8], 20, v[7:8]
	v_cmp_gt_i32_e32 vcc_lo, 16, v9
	v_cmp_ne_u32_e64 s0, 0, v9
                                        ; implicit-def: $vgpr23
	s_delay_alu instid0(VALU_DEP_3) | instskip(NEXT) | instid1(VALU_DEP_1)
	v_dual_cndmask_b32 v8, 0, v8 :: v_dual_cndmask_b32 v7, 7, v7
	v_cmp_ne_u64_e32 vcc_lo, 0, v[7:8]
	s_delay_alu instid0(VALU_DEP_3) | instskip(NEXT) | instid1(SALU_CYCLE_1)
	s_or_b32 s0, s0, vcc_lo
	s_and_saveexec_b32 s5, s0
	s_delay_alu instid0(SALU_CYCLE_1)
	s_xor_b32 s0, exec_lo, s5
; %bb.234:
	v_min_i32_e32 v8, 15, v9
	s_delay_alu instid0(VALU_DEP_1) | instskip(NEXT) | instid1(VALU_DEP_1)
	v_lshl_or_b32 v8, v8, 3, v29
                                        ; implicit-def: $vgpr29
	v_and_or_b32 v23, v7, 7, v8
; %bb.235:
	s_and_not1_saveexec_b32 s0, s0
; %bb.236:
	v_mov_b32_e32 v23, v29
; %bb.237:
	s_or_b32 exec_lo, exec_lo, s0
.LBB4_238:
	s_delay_alu instid0(SALU_CYCLE_1)
	s_or_b32 exec_lo, exec_lo, s4
.LBB4_239:
	s_and_not1_saveexec_b32 s0, s3
	s_delay_alu instid0(SALU_CYCLE_1)
	s_or_b32 exec_lo, exec_lo, s0
                                        ; implicit-def: $vgpr10
                                        ; implicit-def: $vgpr7_vgpr8
.LBB4_240:
	s_and_not1_saveexec_b32 s0, s2
; %bb.241:
	v_cmp_eq_u64_e32 vcc_lo, 0, v[7:8]
	v_or_b32_e32 v9, 0x7f, v10
	s_delay_alu instid0(VALU_DEP_1)
	v_cndmask_b32_e32 v23, v9, v23, vcc_lo
; %bb.242:
	s_or_b32 exec_lo, exec_lo, s0
	v_dual_mul_f32 v7, v14, v22 :: v_dual_mov_b32 v8, 0
	s_mov_b32 s0, 0xc3e00000
	s_delay_alu instid0(VALU_DEP_1) | instid1(SALU_CYCLE_1)
	v_maxmin_f32 v9, v7, s0, 0x43e00000
	s_mov_b32 s0, exec_lo
	s_delay_alu instid0(VALU_DEP_2) | instskip(NEXT) | instid1(VALU_DEP_2)
	v_mov_b32_e32 v31, v8
	v_lshrrev_b32_e32 v10, 24, v9
	v_and_b32_e32 v30, 0x7f800000, v9
	v_and_b32_e32 v7, 0x7fffff, v9
	s_delay_alu instid0(VALU_DEP_3) | instskip(NEXT) | instid1(VALU_DEP_1)
	v_and_b32_e32 v29, 0x80, v10
	v_or_b32_e32 v22, 0x7e, v29
	s_delay_alu instid0(VALU_DEP_4)
	v_cmpx_ne_u64_e32 0x7f800000, v[30:31]
	s_xor_b32 s2, exec_lo, s0
	s_cbranch_execz .LBB4_258
; %bb.243:
	v_dual_mov_b32 v31, v8 :: v_dual_and_b32 v30, 0x7fffffff, v9
	s_mov_b32 s0, exec_lo
	s_delay_alu instid0(VALU_DEP_1)
	v_cmpx_gt_u64_e32 0x43e00001, v[30:31]
	s_xor_b32 s3, exec_lo, s0
	s_cbranch_execz .LBB4_257
; %bb.244:
	v_mov_b32_e32 v22, 0
	s_mov_b32 s4, exec_lo
	v_cmpx_ne_u32_e32 0, v9
	s_cbranch_execz .LBB4_256
; %bb.245:
	v_bfe_u32 v22, v9, 23, 8
	v_or_b32_e32 v31, 0x800000, v7
	s_delay_alu instid0(VALU_DEP_2) | instskip(SKIP_1) | instid1(VALU_DEP_2)
	v_sub_nc_u32_e32 v9, 0x79, v22
	v_cmp_gt_u32_e32 vcc_lo, 0x7a, v22
	v_cndmask_b32_e32 v9, 0, v9, vcc_lo
	v_cmp_eq_u32_e32 vcc_lo, 0, v22
	s_delay_alu instid0(VALU_DEP_2) | instskip(SKIP_1) | instid1(VALU_DEP_2)
	v_cndmask_b32_e64 v30, v9, 0x78, vcc_lo
	v_cndmask_b32_e32 v7, v31, v7, vcc_lo
	v_add_nc_u32_e32 v9, 20, v30
	v_add_nc_u32_e32 v31, 19, v30
	s_delay_alu instid0(VALU_DEP_2) | instskip(NEXT) | instid1(VALU_DEP_1)
	v_lshlrev_b64 v[9:10], v9, -1
	v_not_b32_e32 v33, v9
	s_delay_alu instid0(VALU_DEP_2) | instskip(NEXT) | instid1(VALU_DEP_4)
	v_not_b32_e32 v32, v10
	v_lshlrev_b64 v[9:10], v31, 1
	s_delay_alu instid0(VALU_DEP_3) | instskip(SKIP_1) | instid1(VALU_DEP_4)
	v_and_b32_e32 v31, v7, v33
	v_lshrrev_b64 v[7:8], v30, v[7:8]
	v_and_b32_e32 v32, 0, v32
	s_delay_alu instid0(VALU_DEP_1) | instskip(NEXT) | instid1(VALU_DEP_3)
	v_cmp_eq_u64_e64 s0, v[31:32], v[9:10]
	v_dual_mov_b32 v10, v8 :: v_dual_mov_b32 v9, v7
	s_delay_alu instid0(VALU_DEP_2)
	s_and_saveexec_b32 s5, s0
; %bb.246:
	v_bfe_u32 v9, v7, 20, 1
	s_delay_alu instid0(VALU_DEP_1) | instskip(NEXT) | instid1(VALU_DEP_1)
	v_add_co_u32 v9, s0, v7, v9
	v_add_co_u32 v9, s0, v9, -1
; %bb.247:
	s_or_b32 exec_lo, exec_lo, s5
	v_add_nc_u32_e32 v10, 0xffffff81, v22
	v_lshrrev_b32_e32 v22, 23, v7
	s_delay_alu instid0(VALU_DEP_3) | instskip(SKIP_1) | instid1(VALU_DEP_3)
	v_and_b32_e32 v9, 0xfffff, v9
	s_mov_b32 s0, exec_lo
	v_cndmask_b32_e64 v10, v10, 0xffffff82, vcc_lo
	s_delay_alu instid0(VALU_DEP_2) | instskip(SKIP_1) | instid1(VALU_DEP_3)
	v_add_co_u32 v7, vcc_lo, v9, v7
	v_add_co_ci_u32_e32 v8, vcc_lo, 0, v8, vcc_lo
	v_add3_u32 v10, v30, v10, v22
                                        ; implicit-def: $vgpr9
	s_delay_alu instid0(VALU_DEP_1) | instskip(NEXT) | instid1(VALU_DEP_1)
	v_add_nc_u32_e32 v22, 6, v10
	v_cmpx_ne_u32_e32 0, v22
	s_xor_b32 s0, exec_lo, s0
; %bb.248:
	v_cmp_lt_u64_e32 vcc_lo, 0xffffff, v[7:8]
	v_add_nc_u32_e32 v9, 7, v10
	v_cndmask_b32_e64 v10, 0, 1, vcc_lo
	s_delay_alu instid0(VALU_DEP_2) | instskip(NEXT) | instid1(VALU_DEP_2)
	v_cndmask_b32_e32 v9, v22, v9, vcc_lo
	v_lshrrev_b64 v[7:8], v10, v[7:8]
; %bb.249:
	s_and_not1_saveexec_b32 s0, s0
; %bb.250:
	s_delay_alu instid0(VALU_DEP_1)
	v_bfe_u32 v9, v7, 23, 1
; %bb.251:
	s_or_b32 exec_lo, exec_lo, s0
	s_delay_alu instid0(VALU_DEP_2) | instskip(NEXT) | instid1(VALU_DEP_2)
	v_lshrrev_b64 v[7:8], 20, v[7:8]
	v_cmp_gt_i32_e32 vcc_lo, 16, v9
	v_cmp_ne_u32_e64 s0, 0, v9
                                        ; implicit-def: $vgpr22
	s_delay_alu instid0(VALU_DEP_3) | instskip(NEXT) | instid1(VALU_DEP_1)
	v_dual_cndmask_b32 v8, 0, v8 :: v_dual_cndmask_b32 v7, 7, v7
	v_cmp_ne_u64_e32 vcc_lo, 0, v[7:8]
	s_delay_alu instid0(VALU_DEP_3) | instskip(NEXT) | instid1(SALU_CYCLE_1)
	s_or_b32 s0, s0, vcc_lo
	s_and_saveexec_b32 s5, s0
	s_delay_alu instid0(SALU_CYCLE_1)
	s_xor_b32 s0, exec_lo, s5
; %bb.252:
	v_min_i32_e32 v8, 15, v9
	s_delay_alu instid0(VALU_DEP_1) | instskip(NEXT) | instid1(VALU_DEP_1)
	v_lshl_or_b32 v8, v8, 3, v29
                                        ; implicit-def: $vgpr29
	v_and_or_b32 v22, v7, 7, v8
; %bb.253:
	s_and_not1_saveexec_b32 s0, s0
; %bb.254:
	v_mov_b32_e32 v22, v29
; %bb.255:
	s_or_b32 exec_lo, exec_lo, s0
.LBB4_256:
	s_delay_alu instid0(SALU_CYCLE_1)
	s_or_b32 exec_lo, exec_lo, s4
.LBB4_257:
	s_and_not1_saveexec_b32 s0, s3
	s_delay_alu instid0(SALU_CYCLE_1)
	s_or_b32 exec_lo, exec_lo, s0
                                        ; implicit-def: $vgpr10
                                        ; implicit-def: $vgpr7_vgpr8
.LBB4_258:
	s_and_not1_saveexec_b32 s0, s2
; %bb.259:
	v_cmp_eq_u64_e32 vcc_lo, 0, v[7:8]
	v_or_b32_e32 v9, 0x7f, v10
	s_delay_alu instid0(VALU_DEP_1)
	v_cndmask_b32_e32 v22, v9, v22, vcc_lo
; %bb.260:
	s_or_b32 exec_lo, exec_lo, s0
	v_dual_mul_f32 v7, v14, v21 :: v_dual_mov_b32 v8, 0
	s_mov_b32 s0, 0xc3e00000
	s_delay_alu instid0(VALU_DEP_1) | instid1(SALU_CYCLE_1)
	v_maxmin_f32 v9, v7, s0, 0x43e00000
	s_mov_b32 s0, exec_lo
	s_delay_alu instid0(VALU_DEP_2) | instskip(NEXT) | instid1(VALU_DEP_2)
	v_mov_b32_e32 v31, v8
	v_lshrrev_b32_e32 v10, 24, v9
	v_and_b32_e32 v30, 0x7f800000, v9
	v_and_b32_e32 v7, 0x7fffff, v9
	s_delay_alu instid0(VALU_DEP_3) | instskip(NEXT) | instid1(VALU_DEP_1)
	v_and_b32_e32 v29, 0x80, v10
	v_or_b32_e32 v21, 0x7e, v29
	s_delay_alu instid0(VALU_DEP_4)
	v_cmpx_ne_u64_e32 0x7f800000, v[30:31]
	s_xor_b32 s2, exec_lo, s0
	s_cbranch_execz .LBB4_276
; %bb.261:
	v_dual_mov_b32 v31, v8 :: v_dual_and_b32 v30, 0x7fffffff, v9
	s_mov_b32 s0, exec_lo
	s_delay_alu instid0(VALU_DEP_1)
	v_cmpx_gt_u64_e32 0x43e00001, v[30:31]
	s_xor_b32 s3, exec_lo, s0
	s_cbranch_execz .LBB4_275
; %bb.262:
	v_mov_b32_e32 v21, 0
	s_mov_b32 s4, exec_lo
	v_cmpx_ne_u32_e32 0, v9
	s_cbranch_execz .LBB4_274
; %bb.263:
	v_bfe_u32 v21, v9, 23, 8
	v_or_b32_e32 v31, 0x800000, v7
	s_delay_alu instid0(VALU_DEP_2) | instskip(SKIP_1) | instid1(VALU_DEP_2)
	v_sub_nc_u32_e32 v9, 0x79, v21
	v_cmp_gt_u32_e32 vcc_lo, 0x7a, v21
	v_cndmask_b32_e32 v9, 0, v9, vcc_lo
	v_cmp_eq_u32_e32 vcc_lo, 0, v21
	s_delay_alu instid0(VALU_DEP_2) | instskip(SKIP_1) | instid1(VALU_DEP_2)
	v_cndmask_b32_e64 v30, v9, 0x78, vcc_lo
	v_cndmask_b32_e32 v7, v31, v7, vcc_lo
	v_add_nc_u32_e32 v9, 20, v30
	v_add_nc_u32_e32 v31, 19, v30
	s_delay_alu instid0(VALU_DEP_2) | instskip(NEXT) | instid1(VALU_DEP_1)
	v_lshlrev_b64 v[9:10], v9, -1
	v_not_b32_e32 v33, v9
	s_delay_alu instid0(VALU_DEP_2) | instskip(NEXT) | instid1(VALU_DEP_4)
	v_not_b32_e32 v32, v10
	v_lshlrev_b64 v[9:10], v31, 1
	s_delay_alu instid0(VALU_DEP_3) | instskip(SKIP_1) | instid1(VALU_DEP_4)
	v_and_b32_e32 v31, v7, v33
	v_lshrrev_b64 v[7:8], v30, v[7:8]
	v_and_b32_e32 v32, 0, v32
	s_delay_alu instid0(VALU_DEP_1) | instskip(NEXT) | instid1(VALU_DEP_3)
	v_cmp_eq_u64_e64 s0, v[31:32], v[9:10]
	v_dual_mov_b32 v10, v8 :: v_dual_mov_b32 v9, v7
	s_delay_alu instid0(VALU_DEP_2)
	s_and_saveexec_b32 s5, s0
; %bb.264:
	v_bfe_u32 v9, v7, 20, 1
	s_delay_alu instid0(VALU_DEP_1) | instskip(NEXT) | instid1(VALU_DEP_1)
	v_add_co_u32 v9, s0, v7, v9
	v_add_co_u32 v9, s0, v9, -1
; %bb.265:
	s_or_b32 exec_lo, exec_lo, s5
	v_add_nc_u32_e32 v10, 0xffffff81, v21
	v_lshrrev_b32_e32 v21, 23, v7
	s_delay_alu instid0(VALU_DEP_3) | instskip(SKIP_1) | instid1(VALU_DEP_3)
	v_and_b32_e32 v9, 0xfffff, v9
	s_mov_b32 s0, exec_lo
	v_cndmask_b32_e64 v10, v10, 0xffffff82, vcc_lo
	s_delay_alu instid0(VALU_DEP_2) | instskip(SKIP_1) | instid1(VALU_DEP_3)
	v_add_co_u32 v7, vcc_lo, v9, v7
	v_add_co_ci_u32_e32 v8, vcc_lo, 0, v8, vcc_lo
	v_add3_u32 v10, v30, v10, v21
                                        ; implicit-def: $vgpr9
	s_delay_alu instid0(VALU_DEP_1) | instskip(NEXT) | instid1(VALU_DEP_1)
	v_add_nc_u32_e32 v21, 6, v10
	v_cmpx_ne_u32_e32 0, v21
	s_xor_b32 s0, exec_lo, s0
; %bb.266:
	v_cmp_lt_u64_e32 vcc_lo, 0xffffff, v[7:8]
	v_add_nc_u32_e32 v9, 7, v10
	v_cndmask_b32_e64 v10, 0, 1, vcc_lo
	s_delay_alu instid0(VALU_DEP_2) | instskip(NEXT) | instid1(VALU_DEP_2)
	v_cndmask_b32_e32 v9, v21, v9, vcc_lo
	v_lshrrev_b64 v[7:8], v10, v[7:8]
; %bb.267:
	s_and_not1_saveexec_b32 s0, s0
; %bb.268:
	s_delay_alu instid0(VALU_DEP_1)
	v_bfe_u32 v9, v7, 23, 1
; %bb.269:
	s_or_b32 exec_lo, exec_lo, s0
	s_delay_alu instid0(VALU_DEP_2) | instskip(NEXT) | instid1(VALU_DEP_2)
	v_lshrrev_b64 v[7:8], 20, v[7:8]
	v_cmp_gt_i32_e32 vcc_lo, 16, v9
	v_cmp_ne_u32_e64 s0, 0, v9
                                        ; implicit-def: $vgpr21
	s_delay_alu instid0(VALU_DEP_3) | instskip(NEXT) | instid1(VALU_DEP_1)
	v_dual_cndmask_b32 v8, 0, v8 :: v_dual_cndmask_b32 v7, 7, v7
	v_cmp_ne_u64_e32 vcc_lo, 0, v[7:8]
	s_delay_alu instid0(VALU_DEP_3) | instskip(NEXT) | instid1(SALU_CYCLE_1)
	s_or_b32 s0, s0, vcc_lo
	s_and_saveexec_b32 s5, s0
	s_delay_alu instid0(SALU_CYCLE_1)
	s_xor_b32 s0, exec_lo, s5
; %bb.270:
	v_min_i32_e32 v8, 15, v9
	s_delay_alu instid0(VALU_DEP_1) | instskip(NEXT) | instid1(VALU_DEP_1)
	v_lshl_or_b32 v8, v8, 3, v29
                                        ; implicit-def: $vgpr29
	v_and_or_b32 v21, v7, 7, v8
; %bb.271:
	s_and_not1_saveexec_b32 s0, s0
; %bb.272:
	v_mov_b32_e32 v21, v29
; %bb.273:
	s_or_b32 exec_lo, exec_lo, s0
.LBB4_274:
	s_delay_alu instid0(SALU_CYCLE_1)
	s_or_b32 exec_lo, exec_lo, s4
.LBB4_275:
	s_and_not1_saveexec_b32 s0, s3
	s_delay_alu instid0(SALU_CYCLE_1)
	s_or_b32 exec_lo, exec_lo, s0
                                        ; implicit-def: $vgpr10
                                        ; implicit-def: $vgpr7_vgpr8
.LBB4_276:
	s_and_not1_saveexec_b32 s0, s2
; %bb.277:
	v_cmp_eq_u64_e32 vcc_lo, 0, v[7:8]
	v_or_b32_e32 v9, 0x7f, v10
	s_delay_alu instid0(VALU_DEP_1)
	v_cndmask_b32_e32 v21, v9, v21, vcc_lo
; %bb.278:
	s_or_b32 exec_lo, exec_lo, s0
	v_dual_mul_f32 v7, v14, v16 :: v_dual_mov_b32 v8, 0
	s_mov_b32 s0, 0xc3e00000
	s_delay_alu instid0(VALU_DEP_1) | instid1(SALU_CYCLE_1)
	v_maxmin_f32 v9, v7, s0, 0x43e00000
	s_mov_b32 s0, exec_lo
	s_delay_alu instid0(VALU_DEP_2) | instskip(NEXT) | instid1(VALU_DEP_2)
	v_mov_b32_e32 v31, v8
	v_lshrrev_b32_e32 v10, 24, v9
	v_and_b32_e32 v30, 0x7f800000, v9
	v_and_b32_e32 v7, 0x7fffff, v9
	s_delay_alu instid0(VALU_DEP_3) | instskip(NEXT) | instid1(VALU_DEP_1)
	v_and_b32_e32 v29, 0x80, v10
	v_or_b32_e32 v16, 0x7e, v29
	s_delay_alu instid0(VALU_DEP_4)
	v_cmpx_ne_u64_e32 0x7f800000, v[30:31]
	s_xor_b32 s2, exec_lo, s0
	s_cbranch_execz .LBB4_294
; %bb.279:
	v_dual_mov_b32 v31, v8 :: v_dual_and_b32 v30, 0x7fffffff, v9
	s_mov_b32 s0, exec_lo
	s_delay_alu instid0(VALU_DEP_1)
	v_cmpx_gt_u64_e32 0x43e00001, v[30:31]
	s_xor_b32 s3, exec_lo, s0
	s_cbranch_execz .LBB4_293
; %bb.280:
	v_mov_b32_e32 v16, 0
	s_mov_b32 s4, exec_lo
	v_cmpx_ne_u32_e32 0, v9
	s_cbranch_execz .LBB4_292
; %bb.281:
	v_bfe_u32 v16, v9, 23, 8
	v_or_b32_e32 v31, 0x800000, v7
	s_delay_alu instid0(VALU_DEP_2) | instskip(SKIP_1) | instid1(VALU_DEP_2)
	v_sub_nc_u32_e32 v9, 0x79, v16
	v_cmp_gt_u32_e32 vcc_lo, 0x7a, v16
	v_cndmask_b32_e32 v9, 0, v9, vcc_lo
	v_cmp_eq_u32_e32 vcc_lo, 0, v16
	s_delay_alu instid0(VALU_DEP_2) | instskip(SKIP_1) | instid1(VALU_DEP_2)
	v_cndmask_b32_e64 v30, v9, 0x78, vcc_lo
	v_cndmask_b32_e32 v7, v31, v7, vcc_lo
	v_add_nc_u32_e32 v9, 20, v30
	v_add_nc_u32_e32 v31, 19, v30
	s_delay_alu instid0(VALU_DEP_2) | instskip(NEXT) | instid1(VALU_DEP_1)
	v_lshlrev_b64 v[9:10], v9, -1
	v_not_b32_e32 v33, v9
	s_delay_alu instid0(VALU_DEP_2) | instskip(NEXT) | instid1(VALU_DEP_4)
	v_not_b32_e32 v32, v10
	v_lshlrev_b64 v[9:10], v31, 1
	s_delay_alu instid0(VALU_DEP_3) | instskip(SKIP_1) | instid1(VALU_DEP_4)
	v_and_b32_e32 v31, v7, v33
	v_lshrrev_b64 v[7:8], v30, v[7:8]
	v_and_b32_e32 v32, 0, v32
	s_delay_alu instid0(VALU_DEP_1) | instskip(NEXT) | instid1(VALU_DEP_3)
	v_cmp_eq_u64_e64 s0, v[31:32], v[9:10]
	v_dual_mov_b32 v10, v8 :: v_dual_mov_b32 v9, v7
	s_delay_alu instid0(VALU_DEP_2)
	s_and_saveexec_b32 s5, s0
; %bb.282:
	v_bfe_u32 v9, v7, 20, 1
	s_delay_alu instid0(VALU_DEP_1) | instskip(NEXT) | instid1(VALU_DEP_1)
	v_add_co_u32 v9, s0, v7, v9
	v_add_co_u32 v9, s0, v9, -1
; %bb.283:
	s_or_b32 exec_lo, exec_lo, s5
	v_add_nc_u32_e32 v10, 0xffffff81, v16
	v_lshrrev_b32_e32 v16, 23, v7
	s_delay_alu instid0(VALU_DEP_3) | instskip(SKIP_1) | instid1(VALU_DEP_3)
	v_and_b32_e32 v9, 0xfffff, v9
	s_mov_b32 s0, exec_lo
	v_cndmask_b32_e64 v10, v10, 0xffffff82, vcc_lo
	s_delay_alu instid0(VALU_DEP_2) | instskip(SKIP_1) | instid1(VALU_DEP_3)
	v_add_co_u32 v7, vcc_lo, v9, v7
	v_add_co_ci_u32_e32 v8, vcc_lo, 0, v8, vcc_lo
	v_add3_u32 v10, v30, v10, v16
                                        ; implicit-def: $vgpr9
	s_delay_alu instid0(VALU_DEP_1) | instskip(NEXT) | instid1(VALU_DEP_1)
	v_add_nc_u32_e32 v16, 6, v10
	v_cmpx_ne_u32_e32 0, v16
	s_xor_b32 s0, exec_lo, s0
; %bb.284:
	v_cmp_lt_u64_e32 vcc_lo, 0xffffff, v[7:8]
	v_add_nc_u32_e32 v9, 7, v10
	v_cndmask_b32_e64 v10, 0, 1, vcc_lo
	s_delay_alu instid0(VALU_DEP_2) | instskip(NEXT) | instid1(VALU_DEP_2)
	v_cndmask_b32_e32 v9, v16, v9, vcc_lo
	v_lshrrev_b64 v[7:8], v10, v[7:8]
; %bb.285:
	s_and_not1_saveexec_b32 s0, s0
; %bb.286:
	s_delay_alu instid0(VALU_DEP_1)
	v_bfe_u32 v9, v7, 23, 1
; %bb.287:
	s_or_b32 exec_lo, exec_lo, s0
	s_delay_alu instid0(VALU_DEP_2) | instskip(NEXT) | instid1(VALU_DEP_2)
	v_lshrrev_b64 v[7:8], 20, v[7:8]
	v_cmp_gt_i32_e32 vcc_lo, 16, v9
	v_cmp_ne_u32_e64 s0, 0, v9
                                        ; implicit-def: $vgpr16
	s_delay_alu instid0(VALU_DEP_3) | instskip(NEXT) | instid1(VALU_DEP_1)
	v_dual_cndmask_b32 v8, 0, v8 :: v_dual_cndmask_b32 v7, 7, v7
	v_cmp_ne_u64_e32 vcc_lo, 0, v[7:8]
	s_delay_alu instid0(VALU_DEP_3) | instskip(NEXT) | instid1(SALU_CYCLE_1)
	s_or_b32 s0, s0, vcc_lo
	s_and_saveexec_b32 s5, s0
	s_delay_alu instid0(SALU_CYCLE_1)
	s_xor_b32 s0, exec_lo, s5
; %bb.288:
	v_min_i32_e32 v8, 15, v9
	s_delay_alu instid0(VALU_DEP_1) | instskip(NEXT) | instid1(VALU_DEP_1)
	v_lshl_or_b32 v8, v8, 3, v29
                                        ; implicit-def: $vgpr29
	v_and_or_b32 v16, v7, 7, v8
; %bb.289:
	s_and_not1_saveexec_b32 s0, s0
; %bb.290:
	v_mov_b32_e32 v16, v29
; %bb.291:
	s_or_b32 exec_lo, exec_lo, s0
.LBB4_292:
	s_delay_alu instid0(SALU_CYCLE_1)
	s_or_b32 exec_lo, exec_lo, s4
.LBB4_293:
	s_and_not1_saveexec_b32 s0, s3
	s_delay_alu instid0(SALU_CYCLE_1)
	s_or_b32 exec_lo, exec_lo, s0
                                        ; implicit-def: $vgpr10
                                        ; implicit-def: $vgpr7_vgpr8
.LBB4_294:
	s_and_not1_saveexec_b32 s0, s2
; %bb.295:
	v_cmp_eq_u64_e32 vcc_lo, 0, v[7:8]
	v_or_b32_e32 v9, 0x7f, v10
	s_delay_alu instid0(VALU_DEP_1)
	v_cndmask_b32_e32 v16, v9, v16, vcc_lo
; %bb.296:
	s_or_b32 exec_lo, exec_lo, s0
	v_dual_mul_f32 v7, v14, v13 :: v_dual_mov_b32 v8, 0
	s_mov_b32 s0, 0xc3e00000
	s_delay_alu instid0(VALU_DEP_1) | instid1(SALU_CYCLE_1)
	v_maxmin_f32 v10, v7, s0, 0x43e00000
	s_mov_b32 s0, exec_lo
	s_delay_alu instid0(VALU_DEP_2) | instskip(NEXT) | instid1(VALU_DEP_2)
	v_mov_b32_e32 v30, v8
	v_lshrrev_b32_e32 v14, 24, v10
	v_and_b32_e32 v29, 0x7f800000, v10
	v_and_b32_e32 v7, 0x7fffff, v10
	s_delay_alu instid0(VALU_DEP_3) | instskip(NEXT) | instid1(VALU_DEP_1)
	v_and_b32_e32 v13, 0x80, v14
	v_or_b32_e32 v9, 0x7e, v13
	s_delay_alu instid0(VALU_DEP_4)
	v_cmpx_ne_u64_e32 0x7f800000, v[29:30]
	s_xor_b32 s2, exec_lo, s0
	s_cbranch_execz .LBB4_312
; %bb.297:
	v_dual_mov_b32 v30, v8 :: v_dual_and_b32 v29, 0x7fffffff, v10
	s_mov_b32 s0, exec_lo
	s_delay_alu instid0(VALU_DEP_1)
	v_cmpx_gt_u64_e32 0x43e00001, v[29:30]
	s_xor_b32 s3, exec_lo, s0
	s_cbranch_execz .LBB4_311
; %bb.298:
	v_mov_b32_e32 v9, 0
	s_mov_b32 s4, exec_lo
	v_cmpx_ne_u32_e32 0, v10
	s_cbranch_execz .LBB4_310
; %bb.299:
	v_bfe_u32 v14, v10, 23, 8
	v_or_b32_e32 v30, 0x800000, v7
	s_delay_alu instid0(VALU_DEP_2) | instskip(SKIP_1) | instid1(VALU_DEP_2)
	v_sub_nc_u32_e32 v9, 0x79, v14
	v_cmp_gt_u32_e32 vcc_lo, 0x7a, v14
	v_cndmask_b32_e32 v9, 0, v9, vcc_lo
	v_cmp_eq_u32_e32 vcc_lo, 0, v14
	s_delay_alu instid0(VALU_DEP_2) | instskip(NEXT) | instid1(VALU_DEP_1)
	v_cndmask_b32_e64 v29, v9, 0x78, vcc_lo
	v_dual_cndmask_b32 v7, v30, v7 :: v_dual_add_nc_u32 v30, 19, v29
	v_add_nc_u32_e32 v9, 20, v29
	s_delay_alu instid0(VALU_DEP_1) | instskip(NEXT) | instid1(VALU_DEP_1)
	v_lshlrev_b64 v[9:10], v9, -1
	v_not_b32_e32 v32, v9
	s_delay_alu instid0(VALU_DEP_2) | instskip(SKIP_1) | instid1(VALU_DEP_3)
	v_not_b32_e32 v31, v10
	v_lshlrev_b64 v[9:10], v30, 1
	v_and_b32_e32 v30, v7, v32
	v_lshrrev_b64 v[7:8], v29, v[7:8]
	s_delay_alu instid0(VALU_DEP_4) | instskip(NEXT) | instid1(VALU_DEP_1)
	v_and_b32_e32 v31, 0, v31
	v_cmp_eq_u64_e64 s0, v[30:31], v[9:10]
	s_delay_alu instid0(VALU_DEP_3) | instskip(NEXT) | instid1(VALU_DEP_2)
	v_dual_mov_b32 v10, v8 :: v_dual_mov_b32 v9, v7
	s_and_saveexec_b32 s5, s0
; %bb.300:
	v_bfe_u32 v9, v7, 20, 1
	s_delay_alu instid0(VALU_DEP_1) | instskip(NEXT) | instid1(VALU_DEP_1)
	v_add_co_u32 v9, s0, v7, v9
	v_add_co_u32 v9, s0, v9, -1
; %bb.301:
	s_or_b32 exec_lo, exec_lo, s5
	v_add_nc_u32_e32 v10, 0xffffff81, v14
	v_lshrrev_b32_e32 v14, 23, v7
	s_mov_b32 s0, exec_lo
	s_delay_alu instid0(VALU_DEP_2) | instskip(NEXT) | instid1(VALU_DEP_1)
	v_cndmask_b32_e64 v10, v10, 0xffffff82, vcc_lo
	v_add3_u32 v14, v29, v10, v14
	v_and_b32_e32 v10, 0xfffff, v9
	s_delay_alu instid0(VALU_DEP_2) | instskip(NEXT) | instid1(VALU_DEP_2)
	v_add_nc_u32_e32 v9, 6, v14
	v_add_co_u32 v7, vcc_lo, v10, v7
	v_add_co_ci_u32_e32 v8, vcc_lo, 0, v8, vcc_lo
                                        ; implicit-def: $vgpr10
	s_delay_alu instid0(VALU_DEP_3)
	v_cmpx_ne_u32_e32 0, v9
	s_xor_b32 s0, exec_lo, s0
; %bb.302:
	s_delay_alu instid0(VALU_DEP_2) | instskip(SKIP_1) | instid1(VALU_DEP_1)
	v_cmp_lt_u64_e32 vcc_lo, 0xffffff, v[7:8]
	v_add_nc_u32_e32 v10, 7, v14
	v_cndmask_b32_e32 v10, v9, v10, vcc_lo
	v_cndmask_b32_e64 v9, 0, 1, vcc_lo
	s_delay_alu instid0(VALU_DEP_1)
	v_lshrrev_b64 v[7:8], v9, v[7:8]
; %bb.303:
	s_and_not1_saveexec_b32 s0, s0
; %bb.304:
	s_delay_alu instid0(VALU_DEP_1)
	v_bfe_u32 v10, v7, 23, 1
; %bb.305:
	s_or_b32 exec_lo, exec_lo, s0
	s_delay_alu instid0(VALU_DEP_2) | instskip(NEXT) | instid1(VALU_DEP_2)
	v_lshrrev_b64 v[7:8], 20, v[7:8]
	v_cmp_gt_i32_e32 vcc_lo, 16, v10
	v_cmp_ne_u32_e64 s0, 0, v10
                                        ; implicit-def: $vgpr9
	s_delay_alu instid0(VALU_DEP_3) | instskip(NEXT) | instid1(VALU_DEP_1)
	v_dual_cndmask_b32 v8, 0, v8 :: v_dual_cndmask_b32 v7, 7, v7
	v_cmp_ne_u64_e32 vcc_lo, 0, v[7:8]
	s_delay_alu instid0(VALU_DEP_3) | instskip(NEXT) | instid1(SALU_CYCLE_1)
	s_or_b32 s0, s0, vcc_lo
	s_and_saveexec_b32 s5, s0
	s_delay_alu instid0(SALU_CYCLE_1)
	s_xor_b32 s0, exec_lo, s5
; %bb.306:
	v_min_i32_e32 v8, 15, v10
	s_delay_alu instid0(VALU_DEP_1) | instskip(NEXT) | instid1(VALU_DEP_1)
	v_lshl_or_b32 v8, v8, 3, v13
                                        ; implicit-def: $vgpr13
	v_and_or_b32 v9, v7, 7, v8
; %bb.307:
	s_and_not1_saveexec_b32 s0, s0
; %bb.308:
	v_mov_b32_e32 v9, v13
; %bb.309:
	s_or_b32 exec_lo, exec_lo, s0
.LBB4_310:
	s_delay_alu instid0(SALU_CYCLE_1)
	s_or_b32 exec_lo, exec_lo, s4
.LBB4_311:
	s_and_not1_saveexec_b32 s0, s3
	s_delay_alu instid0(SALU_CYCLE_1)
	s_or_b32 exec_lo, exec_lo, s0
                                        ; implicit-def: $vgpr14
                                        ; implicit-def: $vgpr7_vgpr8
.LBB4_312:
	s_and_not1_saveexec_b32 s0, s2
; %bb.313:
	v_cmp_eq_u64_e32 vcc_lo, 0, v[7:8]
	v_or_b32_e32 v10, 0x7f, v14
	s_delay_alu instid0(VALU_DEP_1)
	v_cndmask_b32_e32 v9, v10, v9, vcc_lo
; %bb.314:
	s_or_b32 exec_lo, exec_lo, s0
	v_mad_i64_i32 v[7:8], null, 0x240, s8, v[3:4]
	v_lshlrev_b64 v[5:6], 3, v[5:6]
	v_lshlrev_b16 v10, 8, v21
	v_and_b32_e32 v13, 0xff, v22
	v_lshlrev_b16 v9, 8, v9
	v_and_b32_e32 v14, 0xff, v16
	;; [unrolled: 2-line block ×3, first 2 shown]
	v_add_co_u32 v3, vcc_lo, v7, v5
	v_add_co_ci_u32_e32 v4, vcc_lo, v8, v6, vcc_lo
	v_or_b32_e32 v5, v13, v10
	v_or_b32_e32 v6, v14, v9
	;; [unrolled: 1-line block ×3, first 2 shown]
	v_lshlrev_b16 v8, 8, v23
	v_and_b32_e32 v9, 0xff, v24
	v_lshlrev_b16 v10, 8, v20
	v_and_b32_e32 v13, 0xff, v19
	;; [unrolled: 2-line block ×5, first 2 shown]
	v_or_b32_e32 v8, v9, v8
	v_or_b32_e32 v9, v13, v10
	;; [unrolled: 1-line block ×5, first 2 shown]
	v_and_b32_e32 v5, 0xffff, v5
	v_lshlrev_b32_e32 v6, 16, v6
	v_and_b32_e32 v7, 0xffff, v7
	v_lshlrev_b32_e32 v14, 16, v8
	;; [unrolled: 2-line block ×4, first 2 shown]
	v_add_co_u32 v1, vcc_lo, v1, v37
	v_add_co_ci_u32_e32 v2, vcc_lo, 0, v2, vcc_lo
	v_and_b32_e32 v0, 3, v0
	v_or_b32_e32 v8, v5, v6
	v_or_b32_e32 v7, v7, v14
	;; [unrolled: 1-line block ×4, first 2 shown]
	s_mov_b32 s0, exec_lo
	global_store_b128 v[1:2], v[5:8], off
	v_cmpx_eq_u32_e32 0, v0
	s_cbranch_execz .LBB4_316
; %bb.315:
	v_add_f32_e32 v0, 0x42fe0000, v11
	v_lshrrev_b32_e32 v1, 2, v38
	s_delay_alu instid0(VALU_DEP_2) | instskip(NEXT) | instid1(VALU_DEP_1)
	v_minmax_f32 v0, v0, 0x437f0000, 0
	v_cvt_i32_f32_e32 v2, v0
	s_delay_alu instid0(VALU_DEP_3)
	v_add_co_u32 v0, vcc_lo, v3, v1
	v_add_co_ci_u32_e32 v1, vcc_lo, 0, v4, vcc_lo
	global_store_b8 v[0:1], v2, off
.LBB4_316:
	s_or_b32 exec_lo, exec_lo, s0
	s_delay_alu instid0(SALU_CYCLE_1)
	s_mov_b32 s0, exec_lo
	v_cmpx_eq_u32_e32 0, v38
	s_cbranch_execz .LBB4_318
; %bb.317:
	v_mov_b32_e32 v0, 0
	global_store_b8 v[3:4], v0, off offset:7
.LBB4_318:
	s_or_b32 exec_lo, exec_lo, s0
                                        ; implicit-def: $vgpr37
                                        ; implicit-def: $vgpr34
                                        ; implicit-def: $vgpr35
                                        ; implicit-def: $vgpr36
                                        ; implicit-def: $vgpr39
                                        ; implicit-def: $vgpr40
                                        ; implicit-def: $vgpr41
                                        ; implicit-def: $vgpr7
                                        ; implicit-def: $vgpr43
                                        ; implicit-def: $vgpr8
                                        ; implicit-def: $vgpr9
                                        ; implicit-def: $vgpr10
                                        ; implicit-def: $vgpr11
                                        ; implicit-def: $vgpr12
                                        ; implicit-def: $vgpr14
                                        ; implicit-def: $vgpr15
                                        ; implicit-def: $vgpr44
                                        ; implicit-def: $vgpr1_vgpr2
.LBB4_319:
	s_and_not1_saveexec_b32 s0, s1
	s_cbranch_execz .LBB4_321
; %bb.320:
	v_lshlrev_b32_e32 v0, 1, v37
	v_perm_b32 v3, v43, v7, 0x5040100
	v_perm_b32 v7, v44, v15, 0x5040100
	v_perm_b32 v6, v14, v12, 0x5040100
	v_perm_b32 v5, v11, v10, 0x5040100
	v_add_co_u32 v16, vcc_lo, v1, v0
	v_add_co_ci_u32_e32 v17, vcc_lo, 0, v2, vcc_lo
	v_perm_b32 v2, v41, v40, 0x5040100
	v_perm_b32 v1, v39, v36, 0x5040100
	;; [unrolled: 1-line block ×4, first 2 shown]
	s_clause 0x1
	global_store_b128 v[16:17], v[0:3], off offset:-448
	global_store_b128 v[16:17], v[4:7], off offset:-432
.LBB4_321:
	s_or_b32 exec_lo, exec_lo, s7
                                        ; implicit-def: $vgpr1_vgpr2_vgpr3_vgpr4_vgpr5_vgpr6_vgpr7_vgpr8_vgpr9_vgpr10_vgpr11_vgpr12_vgpr13_vgpr14_vgpr15_vgpr16
                                        ; implicit-def: $vgpr33
                                        ; implicit-def: $vgpr35
                                        ; implicit-def: $vgpr37
	s_and_not1_saveexec_b32 s0, s6
	s_cbranch_execnz .LBB4_14
	s_branch .LBB4_15
	.section	.rodata,"a",@progbits
	.p2align	6, 0x0
	.amdhsa_kernel _ZN4vllm21deepseek_v4_fused_ops47fusedDeepseekV4QNormRopeKVRopeQuantInsertKernelIN3c104HalfELi128EEEvPKT_PS4_S6_PhPKlSA_PKffiiiii
		.amdhsa_group_segment_fixed_size 0
		.amdhsa_private_segment_fixed_size 0
		.amdhsa_kernarg_size 336
		.amdhsa_user_sgpr_count 15
		.amdhsa_user_sgpr_dispatch_ptr 0
		.amdhsa_user_sgpr_queue_ptr 0
		.amdhsa_user_sgpr_kernarg_segment_ptr 1
		.amdhsa_user_sgpr_dispatch_id 0
		.amdhsa_user_sgpr_private_segment_size 0
		.amdhsa_wavefront_size32 1
		.amdhsa_uses_dynamic_stack 0
		.amdhsa_enable_private_segment 0
		.amdhsa_system_sgpr_workgroup_id_x 1
		.amdhsa_system_sgpr_workgroup_id_y 0
		.amdhsa_system_sgpr_workgroup_id_z 0
		.amdhsa_system_sgpr_workgroup_info 0
		.amdhsa_system_vgpr_workitem_id 0
		.amdhsa_next_free_vgpr 49
		.amdhsa_next_free_sgpr 22
		.amdhsa_reserve_vcc 1
		.amdhsa_float_round_mode_32 0
		.amdhsa_float_round_mode_16_64 0
		.amdhsa_float_denorm_mode_32 3
		.amdhsa_float_denorm_mode_16_64 3
		.amdhsa_dx10_clamp 1
		.amdhsa_ieee_mode 1
		.amdhsa_fp16_overflow 0
		.amdhsa_workgroup_processor_mode 1
		.amdhsa_memory_ordered 1
		.amdhsa_forward_progress 0
		.amdhsa_shared_vgpr_count 0
		.amdhsa_exception_fp_ieee_invalid_op 0
		.amdhsa_exception_fp_denorm_src 0
		.amdhsa_exception_fp_ieee_div_zero 0
		.amdhsa_exception_fp_ieee_overflow 0
		.amdhsa_exception_fp_ieee_underflow 0
		.amdhsa_exception_fp_ieee_inexact 0
		.amdhsa_exception_int_div_zero 0
	.end_amdhsa_kernel
	.section	.text._ZN4vllm21deepseek_v4_fused_ops47fusedDeepseekV4QNormRopeKVRopeQuantInsertKernelIN3c104HalfELi128EEEvPKT_PS4_S6_PhPKlSA_PKffiiiii,"axG",@progbits,_ZN4vllm21deepseek_v4_fused_ops47fusedDeepseekV4QNormRopeKVRopeQuantInsertKernelIN3c104HalfELi128EEEvPKT_PS4_S6_PhPKlSA_PKffiiiii,comdat
.Lfunc_end4:
	.size	_ZN4vllm21deepseek_v4_fused_ops47fusedDeepseekV4QNormRopeKVRopeQuantInsertKernelIN3c104HalfELi128EEEvPKT_PS4_S6_PhPKlSA_PKffiiiii, .Lfunc_end4-_ZN4vllm21deepseek_v4_fused_ops47fusedDeepseekV4QNormRopeKVRopeQuantInsertKernelIN3c104HalfELi128EEEvPKT_PS4_S6_PhPKlSA_PKffiiiii
                                        ; -- End function
	.section	.AMDGPU.csdata,"",@progbits
; Kernel info:
; codeLenInByte = 14000
; NumSgprs: 24
; NumVgprs: 49
; ScratchSize: 0
; MemoryBound: 1
; FloatMode: 240
; IeeeMode: 1
; LDSByteSize: 0 bytes/workgroup (compile time only)
; SGPRBlocks: 2
; VGPRBlocks: 6
; NumSGPRsForWavesPerEU: 24
; NumVGPRsForWavesPerEU: 49
; Occupancy: 16
; WaveLimiterHint : 1
; COMPUTE_PGM_RSRC2:SCRATCH_EN: 0
; COMPUTE_PGM_RSRC2:USER_SGPR: 15
; COMPUTE_PGM_RSRC2:TRAP_HANDLER: 0
; COMPUTE_PGM_RSRC2:TGID_X_EN: 1
; COMPUTE_PGM_RSRC2:TGID_Y_EN: 0
; COMPUTE_PGM_RSRC2:TGID_Z_EN: 0
; COMPUTE_PGM_RSRC2:TIDIG_COMP_CNT: 0
	.section	.text._ZN4vllm21deepseek_v4_fused_ops47fusedDeepseekV4QNormRopeKVRopeQuantInsertKernelIN3c108BFloat16ELi8EEEvPKT_PS4_S6_PhPKlSA_PKffiiiii,"axG",@progbits,_ZN4vllm21deepseek_v4_fused_ops47fusedDeepseekV4QNormRopeKVRopeQuantInsertKernelIN3c108BFloat16ELi8EEEvPKT_PS4_S6_PhPKlSA_PKffiiiii,comdat
	.protected	_ZN4vllm21deepseek_v4_fused_ops47fusedDeepseekV4QNormRopeKVRopeQuantInsertKernelIN3c108BFloat16ELi8EEEvPKT_PS4_S6_PhPKlSA_PKffiiiii ; -- Begin function _ZN4vllm21deepseek_v4_fused_ops47fusedDeepseekV4QNormRopeKVRopeQuantInsertKernelIN3c108BFloat16ELi8EEEvPKT_PS4_S6_PhPKlSA_PKffiiiii
	.globl	_ZN4vllm21deepseek_v4_fused_ops47fusedDeepseekV4QNormRopeKVRopeQuantInsertKernelIN3c108BFloat16ELi8EEEvPKT_PS4_S6_PhPKlSA_PKffiiiii
	.p2align	8
	.type	_ZN4vllm21deepseek_v4_fused_ops47fusedDeepseekV4QNormRopeKVRopeQuantInsertKernelIN3c108BFloat16ELi8EEEvPKT_PS4_S6_PhPKlSA_PKffiiiii,@function
_ZN4vllm21deepseek_v4_fused_ops47fusedDeepseekV4QNormRopeKVRopeQuantInsertKernelIN3c108BFloat16ELi8EEEvPKT_PS4_S6_PhPKlSA_PKffiiiii: ; @_ZN4vllm21deepseek_v4_fused_ops47fusedDeepseekV4QNormRopeKVRopeQuantInsertKernelIN3c108BFloat16ELi8EEEvPKT_PS4_S6_PhPKlSA_PKffiiiii
; %bb.0:
	s_clause 0x1
	s_load_b32 s2, s[0:1], 0x5c
	s_load_b128 s[8:11], s[0:1], 0x38
	v_lshrrev_b32_e32 v3, 5, v0
	s_waitcnt lgkmcnt(0)
	s_bfe_u32 s2, s2, 0xb0005
	s_delay_alu instid0(VALU_DEP_1) | instid1(SALU_CYCLE_1)
	v_mad_u64_u32 v[1:2], null, s15, s2, v[3:4]
	s_mov_b32 s2, exec_lo
	s_delay_alu instid0(VALU_DEP_1) | instskip(NEXT) | instid1(VALU_DEP_1)
	v_mul_hi_i32 v2, 0x38e38e39, v1
	v_lshrrev_b32_e32 v3, 31, v2
	v_ashrrev_i32_e32 v2, 1, v2
	s_delay_alu instid0(VALU_DEP_1) | instskip(NEXT) | instid1(VALU_DEP_1)
	v_add_nc_u32_e32 v33, v2, v3
	v_cmpx_gt_i32_e64 s9, v33
	s_cbranch_execz .LBB5_449
; %bb.1:
	s_load_b64 s[14:15], s[0:1], 0x48
	v_lshl_add_u32 v2, v33, 3, v33
	v_cmp_gt_i32_e64 s3, s10, v33
	s_delay_alu instid0(VALU_DEP_2) | instskip(NEXT) | instid1(VALU_DEP_1)
	v_sub_nc_u32_e32 v35, v1, v2
	v_cmp_ne_u32_e64 s2, 8, v35
	v_cmp_eq_u32_e32 vcc_lo, 8, v35
	s_delay_alu instid0(VALU_DEP_2) | instskip(NEXT) | instid1(SALU_CYCLE_1)
	s_or_b32 s3, s2, s3
	s_and_b32 exec_lo, exec_lo, s3
	s_cbranch_execz .LBB5_449
; %bb.2:
	s_clause 0x2
	s_load_b64 s[12:13], s[0:1], 0x8
	s_load_b128 s[4:7], s[0:1], 0x20
	s_load_b64 s[16:17], s[0:1], 0x30
	v_and_b32_e32 v38, 31, v0
	v_cmp_gt_i32_e64 s3, s11, v35
	v_ashrrev_i32_e32 v34, 31, v33
	s_xor_b32 s9, s2, -1
                                        ; implicit-def: $vgpr8
                                        ; implicit-def: $vgpr16
	s_delay_alu instid0(VALU_DEP_3) | instskip(NEXT) | instid1(VALU_DEP_3)
	v_lshlrev_b32_e32 v37, 4, v38
	s_or_b32 s9, s9, s3
	s_delay_alu instid0(SALU_CYCLE_1)
	s_and_saveexec_b32 s10, s9
	s_cbranch_execz .LBB5_8
; %bb.3:
                                        ; implicit-def: $vgpr1_vgpr2
	s_and_saveexec_b32 s3, vcc_lo
	s_delay_alu instid0(SALU_CYCLE_1)
	s_xor_b32 s18, exec_lo, s3
	s_cbranch_execz .LBB5_5
; %bb.4:
	s_load_b64 s[20:21], s[0:1], 0x10
	v_lshlrev_b64 v[1:2], 10, v[33:34]
	v_lshlrev_b32_e32 v3, 1, v37
	s_waitcnt lgkmcnt(0)
	s_delay_alu instid0(VALU_DEP_2) | instskip(NEXT) | instid1(VALU_DEP_1)
	v_add_co_u32 v1, s3, s20, v1
	v_add_co_ci_u32_e64 v2, s3, s21, v2, s3
	s_delay_alu instid0(VALU_DEP_2) | instskip(NEXT) | instid1(VALU_DEP_1)
	v_add_co_u32 v1, s3, v1, v3
	v_add_co_ci_u32_e64 v2, s3, 0, v2, s3
.LBB5_5:
	s_and_not1_saveexec_b32 s18, s18
	s_cbranch_execz .LBB5_7
; %bb.6:
	v_ashrrev_i32_e32 v36, 31, v35
	s_load_b64 s[20:21], s[0:1], 0x0
	s_delay_alu instid0(VALU_DEP_1) | instskip(NEXT) | instid1(VALU_DEP_1)
	v_mad_i64_i32 v[1:2], null, v33, s11, v[35:36]
	v_lshlrev_b64 v[1:2], 10, v[1:2]
	s_delay_alu instid0(VALU_DEP_1) | instskip(SKIP_1) | instid1(VALU_DEP_1)
	v_lshl_or_b32 v1, v37, 1, v1
	s_waitcnt lgkmcnt(0)
	v_add_co_u32 v1, s3, s20, v1
	s_delay_alu instid0(VALU_DEP_1)
	v_add_co_ci_u32_e64 v2, s3, s21, v2, s3
.LBB5_7:
	s_or_b32 exec_lo, exec_lo, s18
	s_clause 0x1
	global_load_b128 v[5:8], v[1:2], off
	global_load_b128 v[13:16], v[1:2], off offset:16
.LBB5_8:
	s_or_b32 exec_lo, exec_lo, s10
	s_load_b64 s[10:11], s[0:1], 0x18
	s_and_saveexec_b32 s0, s9
	s_delay_alu instid0(SALU_CYCLE_1)
	s_xor_b32 s9, exec_lo, s0
	s_cbranch_execz .LBB5_447
; %bb.9:
	s_waitcnt vmcnt(1)
	v_lshlrev_b32_e32 v1, 16, v5
	v_and_b32_e32 v2, 0xffff0000, v5
	v_lshlrev_b32_e32 v3, 16, v6
	v_and_b32_e32 v4, 0xffff0000, v6
	;; [unrolled: 2-line block ×4, first 2 shown]
	s_waitcnt vmcnt(0)
	v_lshlrev_b32_e32 v9, 16, v13
	v_and_b32_e32 v10, 0xffff0000, v13
	v_lshlrev_b32_e32 v11, 16, v14
	v_and_b32_e32 v12, 0xffff0000, v14
	v_lshlrev_b32_e32 v13, 16, v15
	v_and_b32_e32 v14, 0xffff0000, v15
	v_lshlrev_b32_e32 v15, 16, v16
	v_and_b32_e32 v16, 0xffff0000, v16
	s_and_saveexec_b32 s1, s2
	s_cbranch_execz .LBB5_11
; %bb.10:
	v_mbcnt_lo_u32_b32 v18, -1, 0
	s_delay_alu instid0(VALU_DEP_1) | instskip(SKIP_1) | instid1(VALU_DEP_2)
	v_xor_b32_e32 v19, 16, v18
	v_xor_b32_e32 v20, 8, v18
	v_cmp_gt_i32_e64 s0, 32, v19
	s_delay_alu instid0(VALU_DEP_1) | instskip(NEXT) | instid1(VALU_DEP_3)
	v_cndmask_b32_e64 v19, v18, v19, s0
	v_cmp_gt_i32_e64 s0, 32, v20
	s_delay_alu instid0(VALU_DEP_2) | instskip(NEXT) | instid1(VALU_DEP_2)
	v_lshlrev_b32_e32 v19, 2, v19
	v_cndmask_b32_e64 v20, v18, v20, s0
	s_delay_alu instid0(VALU_DEP_1) | instskip(NEXT) | instid1(VALU_DEP_1)
	v_dual_mul_f32 v17, v2, v2 :: v_dual_lshlrev_b32 v20, 2, v20
	v_fmac_f32_e32 v17, v1, v1
	s_delay_alu instid0(VALU_DEP_1) | instskip(NEXT) | instid1(VALU_DEP_1)
	v_fmac_f32_e32 v17, v3, v3
	v_fmac_f32_e32 v17, v4, v4
	s_delay_alu instid0(VALU_DEP_1) | instskip(NEXT) | instid1(VALU_DEP_1)
	v_fmac_f32_e32 v17, v5, v5
	;; [unrolled: 3-line block ×7, first 2 shown]
	v_fmac_f32_e32 v17, v16, v16
	ds_bpermute_b32 v19, v19, v17
	s_waitcnt lgkmcnt(0)
	v_add_f32_e32 v17, v17, v19
	ds_bpermute_b32 v19, v20, v17
	v_xor_b32_e32 v20, 4, v18
	s_delay_alu instid0(VALU_DEP_1) | instskip(NEXT) | instid1(VALU_DEP_1)
	v_cmp_gt_i32_e64 s0, 32, v20
	v_cndmask_b32_e64 v20, v18, v20, s0
	s_waitcnt lgkmcnt(0)
	s_delay_alu instid0(VALU_DEP_1) | instskip(SKIP_2) | instid1(VALU_DEP_1)
	v_dual_add_f32 v17, v17, v19 :: v_dual_lshlrev_b32 v20, 2, v20
	ds_bpermute_b32 v19, v20, v17
	v_xor_b32_e32 v20, 2, v18
	v_cmp_gt_i32_e64 s0, 32, v20
	s_delay_alu instid0(VALU_DEP_1) | instskip(SKIP_1) | instid1(VALU_DEP_1)
	v_cndmask_b32_e64 v20, v18, v20, s0
	s_waitcnt lgkmcnt(0)
	v_dual_add_f32 v17, v17, v19 :: v_dual_lshlrev_b32 v20, 2, v20
	ds_bpermute_b32 v19, v20, v17
	v_xor_b32_e32 v20, 1, v18
	s_delay_alu instid0(VALU_DEP_1) | instskip(NEXT) | instid1(VALU_DEP_1)
	v_cmp_gt_i32_e64 s0, 32, v20
	v_cndmask_b32_e64 v18, v18, v20, s0
	s_waitcnt lgkmcnt(0)
	s_delay_alu instid0(VALU_DEP_1) | instskip(SKIP_4) | instid1(VALU_DEP_1)
	v_dual_add_f32 v17, v17, v19 :: v_dual_lshlrev_b32 v18, 2, v18
	v_mov_b32_e32 v19, s8
	ds_bpermute_b32 v18, v18, v17
	s_waitcnt lgkmcnt(0)
	v_add_f32_e32 v17, v17, v18
	v_fmamk_f32 v17, v17, 0x3b000000, v19
	s_delay_alu instid0(VALU_DEP_1) | instskip(SKIP_1) | instid1(VALU_DEP_1)
	v_mul_f32_e32 v18, 0x4b800000, v17
	v_cmp_gt_f32_e64 s0, 0x800000, v17
	v_cndmask_b32_e64 v17, v17, v18, s0
	s_delay_alu instid0(VALU_DEP_1) | instskip(SKIP_2) | instid1(VALU_DEP_1)
	v_rsq_f32_e32 v17, v17
	s_waitcnt_depctr 0xfff
	v_mul_f32_e32 v18, 0x45800000, v17
	v_cndmask_b32_e64 v17, v17, v18, s0
	s_delay_alu instid0(VALU_DEP_1)
	v_mul_f32_e32 v1, v17, v1
	v_mul_f32_e32 v2, v17, v2
	;; [unrolled: 1-line block ×16, first 2 shown]
.LBB5_11:
	s_or_b32 exec_lo, exec_lo, s1
	v_cmp_gt_u32_e64 s0, 28, v38
	s_mov_b32 s2, exec_lo
	v_cmpx_lt_u32_e32 27, v38
	s_cbranch_execz .LBB5_14
; %bb.12:
	v_lshlrev_b64 v[17:18], 3, v[33:34]
	v_dual_mov_b32 v20, 0 :: v_dual_add_nc_u32 v19, 0xfffffe40, v37
	s_delay_alu instid0(VALU_DEP_1) | instskip(SKIP_1) | instid1(VALU_DEP_3)
	v_lshrrev_b32_e32 v19, 1, v19
	s_waitcnt lgkmcnt(0)
	v_add_co_u32 v17, s1, s6, v17
	s_delay_alu instid0(VALU_DEP_1) | instskip(NEXT) | instid1(VALU_DEP_3)
	v_add_co_ci_u32_e64 v18, s1, s7, v18, s1
	v_lshlrev_b64 v[19:20], 2, v[19:20]
	global_load_b64 v[17:18], v[17:18], off
	s_waitcnt vmcnt(0)
	v_lshlrev_b64 v[17:18], 8, v[17:18]
	s_delay_alu instid0(VALU_DEP_1) | instskip(NEXT) | instid1(VALU_DEP_1)
	v_add_co_u32 v17, s1, s16, v17
	v_add_co_ci_u32_e64 v18, s1, s17, v18, s1
	s_delay_alu instid0(VALU_DEP_2) | instskip(NEXT) | instid1(VALU_DEP_1)
	v_add_co_u32 v17, s1, v17, v19
	v_add_co_ci_u32_e64 v18, s1, v18, v20, s1
	s_clause 0x3
	global_load_b128 v[20:23], v[17:18], off offset:128
	global_load_b128 v[28:31], v[17:18], off offset:144
	global_load_b128 v[39:42], v[17:18], off
	global_load_b128 v[43:46], v[17:18], off offset:16
	s_waitcnt vmcnt(3)
	v_mul_f32_e32 v17, v2, v20
	v_dual_mul_f32 v18, v1, v20 :: v_dual_mul_f32 v19, v4, v21
	v_dual_mul_f32 v20, v3, v21 :: v_dual_mul_f32 v21, v6, v22
	v_mul_f32_e32 v24, v7, v23
	v_dual_mul_f32 v22, v5, v22 :: v_dual_mul_f32 v25, v8, v23
	s_waitcnt vmcnt(2)
	v_dual_mul_f32 v27, v10, v28 :: v_dual_mul_f32 v36, v12, v29
	v_mul_f32_e32 v26, v9, v28
	v_dual_mul_f32 v28, v11, v29 :: v_dual_mul_f32 v47, v16, v31
	v_mul_f32_e32 v29, v14, v30
	v_mul_f32_e32 v30, v13, v30
	;; [unrolled: 1-line block ×3, first 2 shown]
	s_waitcnt vmcnt(1)
	v_fma_f32 v17, v1, v39, -v17
	v_fmac_f32_e32 v18, v2, v39
	v_fma_f32 v19, v3, v40, -v19
	v_fmac_f32_e32 v20, v4, v40
	v_fma_f32 v21, v5, v41, -v21
	v_fmac_f32_e32 v22, v6, v41
	v_fma_f32 v23, v7, v42, -v25
	v_fmac_f32_e32 v24, v8, v42
	s_waitcnt vmcnt(0)
	v_fma_f32 v25, v9, v43, -v27
	v_fmac_f32_e32 v26, v10, v43
	v_fma_f32 v27, v11, v44, -v36
	v_fmac_f32_e32 v28, v12, v44
	;; [unrolled: 2-line block ×4, first 2 shown]
	v_dual_mov_b32 v1, v17 :: v_dual_mov_b32 v2, v18
	v_dual_mov_b32 v3, v19 :: v_dual_mov_b32 v4, v20
	;; [unrolled: 1-line block ×8, first 2 shown]
	s_or_b32 exec_lo, exec_lo, s2
	s_and_saveexec_b32 s1, vcc_lo
	s_delay_alu instid0(SALU_CYCLE_1)
	s_xor_b32 s6, exec_lo, s1
	s_cbranch_execnz .LBB5_15
.LBB5_13:
	s_and_not1_saveexec_b32 s0, s6
	s_cbranch_execnz .LBB5_381
	s_branch .LBB5_446
.LBB5_14:
	s_or_b32 exec_lo, exec_lo, s2
	s_and_saveexec_b32 s1, vcc_lo
	s_waitcnt lgkmcnt(0)
	s_xor_b32 s6, exec_lo, s1
	s_cbranch_execz .LBB5_13
.LBB5_15:
	v_lshlrev_b64 v[17:18], 3, v[33:34]
	s_mov_b32 s7, exec_lo
	s_delay_alu instid0(VALU_DEP_1) | instskip(NEXT) | instid1(VALU_DEP_2)
	v_add_co_u32 v17, vcc_lo, s4, v17
	v_add_co_ci_u32_e32 v18, vcc_lo, s5, v18, vcc_lo
	global_load_b64 v[17:18], v[17:18], off
	s_waitcnt vmcnt(0)
	v_cmpx_lt_i64_e32 -1, v[17:18]
                                        ; implicit-def: $vgpr34
	s_cbranch_execz .LBB5_380
; %bb.16:
	s_ashr_i32 s16, s14, 31
	v_mov_b32_e32 v19, 0
	v_or_b32_e32 v20, s16, v18
	s_mov_b32 s8, s14
	s_delay_alu instid0(VALU_DEP_1) | instskip(SKIP_1) | instid1(SALU_CYCLE_1)
	v_cmp_ne_u64_e32 vcc_lo, 0, v[19:20]
                                        ; implicit-def: $vgpr19_vgpr20
	s_and_saveexec_b32 s1, vcc_lo
	s_xor_b32 s14, exec_lo, s1
	s_cbranch_execz .LBB5_18
; %bb.17:
	s_add_u32 s4, s8, s16
	s_mov_b32 s2, s16
	s_mov_b32 s3, s16
	s_addc_u32 s5, s16, s16
	s_delay_alu instid0(SALU_CYCLE_1) | instskip(NEXT) | instid1(SALU_CYCLE_1)
	s_xor_b64 s[4:5], s[4:5], s[2:3]
	v_cvt_f32_u32_e32 v19, s4
	v_cvt_f32_u32_e32 v20, s5
	s_sub_u32 s1, 0, s4
	s_subb_u32 s17, 0, s5
	s_delay_alu instid0(VALU_DEP_1) | instskip(NEXT) | instid1(VALU_DEP_1)
	v_fmamk_f32 v19, v20, 0x4f800000, v19
	v_rcp_f32_e32 v19, v19
	s_waitcnt_depctr 0xfff
	v_mul_f32_e32 v19, 0x5f7ffffc, v19
	s_delay_alu instid0(VALU_DEP_1) | instskip(NEXT) | instid1(VALU_DEP_1)
	v_mul_f32_e32 v20, 0x2f800000, v19
	v_trunc_f32_e32 v20, v20
	s_delay_alu instid0(VALU_DEP_1) | instskip(SKIP_1) | instid1(VALU_DEP_2)
	v_fmamk_f32 v19, v20, 0xcf800000, v19
	v_cvt_u32_f32_e32 v20, v20
	v_cvt_u32_f32_e32 v19, v19
	s_delay_alu instid0(VALU_DEP_2) | instskip(NEXT) | instid1(VALU_DEP_2)
	v_mul_lo_u32 v21, s1, v20
	v_mul_hi_u32 v22, s1, v19
	v_mul_lo_u32 v23, s17, v19
	s_delay_alu instid0(VALU_DEP_2) | instskip(SKIP_1) | instid1(VALU_DEP_2)
	v_add_nc_u32_e32 v21, v22, v21
	v_mul_lo_u32 v22, s1, v19
	v_add_nc_u32_e32 v21, v21, v23
	s_delay_alu instid0(VALU_DEP_2) | instskip(NEXT) | instid1(VALU_DEP_2)
	v_mul_hi_u32 v23, v19, v22
	v_mul_lo_u32 v24, v19, v21
	v_mul_hi_u32 v25, v19, v21
	v_mul_hi_u32 v26, v20, v22
	v_mul_lo_u32 v22, v20, v22
	v_mul_hi_u32 v27, v20, v21
	v_mul_lo_u32 v21, v20, v21
	v_add_co_u32 v23, vcc_lo, v23, v24
	v_add_co_ci_u32_e32 v24, vcc_lo, 0, v25, vcc_lo
	s_delay_alu instid0(VALU_DEP_2) | instskip(NEXT) | instid1(VALU_DEP_2)
	v_add_co_u32 v22, vcc_lo, v23, v22
	v_add_co_ci_u32_e32 v22, vcc_lo, v24, v26, vcc_lo
	v_add_co_ci_u32_e32 v23, vcc_lo, 0, v27, vcc_lo
	v_ashrrev_i32_e32 v26, 31, v18
	s_delay_alu instid0(VALU_DEP_3) | instskip(NEXT) | instid1(VALU_DEP_3)
	v_add_co_u32 v21, vcc_lo, v22, v21
	v_add_co_ci_u32_e32 v22, vcc_lo, 0, v23, vcc_lo
	s_delay_alu instid0(VALU_DEP_2) | instskip(NEXT) | instid1(VALU_DEP_2)
	v_add_co_u32 v19, vcc_lo, v19, v21
	v_add_co_ci_u32_e32 v20, vcc_lo, v20, v22, vcc_lo
	s_delay_alu instid0(VALU_DEP_2) | instskip(SKIP_1) | instid1(VALU_DEP_3)
	v_mul_hi_u32 v21, s1, v19
	v_mul_lo_u32 v23, s17, v19
	v_mul_lo_u32 v22, s1, v20
	s_delay_alu instid0(VALU_DEP_1) | instskip(SKIP_1) | instid1(VALU_DEP_2)
	v_add_nc_u32_e32 v21, v21, v22
	v_mul_lo_u32 v22, s1, v19
	v_add_nc_u32_e32 v21, v21, v23
	s_delay_alu instid0(VALU_DEP_2) | instskip(NEXT) | instid1(VALU_DEP_2)
	v_mul_hi_u32 v23, v19, v22
	v_mul_lo_u32 v24, v19, v21
	v_mul_hi_u32 v25, v19, v21
	v_mul_hi_u32 v27, v20, v22
	v_mul_lo_u32 v22, v20, v22
	v_mul_hi_u32 v28, v20, v21
	v_mul_lo_u32 v21, v20, v21
	v_add_co_u32 v23, vcc_lo, v23, v24
	v_add_co_ci_u32_e32 v24, vcc_lo, 0, v25, vcc_lo
	s_delay_alu instid0(VALU_DEP_2) | instskip(NEXT) | instid1(VALU_DEP_2)
	v_add_co_u32 v22, vcc_lo, v23, v22
	v_add_co_ci_u32_e32 v22, vcc_lo, v24, v27, vcc_lo
	v_add_co_ci_u32_e32 v23, vcc_lo, 0, v28, vcc_lo
	v_add_co_u32 v24, vcc_lo, v17, v26
	v_add_co_ci_u32_e32 v25, vcc_lo, v18, v26, vcc_lo
	s_delay_alu instid0(VALU_DEP_4) | instskip(NEXT) | instid1(VALU_DEP_4)
	v_add_co_u32 v21, vcc_lo, v22, v21
	v_add_co_ci_u32_e32 v22, vcc_lo, 0, v23, vcc_lo
	s_delay_alu instid0(VALU_DEP_4) | instskip(NEXT) | instid1(VALU_DEP_3)
	v_xor_b32_e32 v27, v24, v26
	v_add_co_u32 v23, vcc_lo, v19, v21
	s_delay_alu instid0(VALU_DEP_3) | instskip(SKIP_1) | instid1(VALU_DEP_3)
	v_add_co_ci_u32_e32 v28, vcc_lo, v20, v22, vcc_lo
	v_xor_b32_e32 v25, v25, v26
	v_mul_hi_u32 v29, v27, v23
	s_delay_alu instid0(VALU_DEP_3) | instskip(NEXT) | instid1(VALU_DEP_3)
	v_mad_u64_u32 v[19:20], null, v27, v28, 0
	v_mad_u64_u32 v[21:22], null, v25, v23, 0
	;; [unrolled: 1-line block ×3, first 2 shown]
	s_delay_alu instid0(VALU_DEP_3) | instskip(NEXT) | instid1(VALU_DEP_4)
	v_add_co_u32 v19, vcc_lo, v29, v19
	v_add_co_ci_u32_e32 v20, vcc_lo, 0, v20, vcc_lo
	s_delay_alu instid0(VALU_DEP_2) | instskip(NEXT) | instid1(VALU_DEP_2)
	v_add_co_u32 v19, vcc_lo, v19, v21
	v_add_co_ci_u32_e32 v19, vcc_lo, v20, v22, vcc_lo
	v_add_co_ci_u32_e32 v20, vcc_lo, 0, v24, vcc_lo
	s_delay_alu instid0(VALU_DEP_2) | instskip(NEXT) | instid1(VALU_DEP_2)
	v_add_co_u32 v21, vcc_lo, v19, v23
	v_add_co_ci_u32_e32 v22, vcc_lo, 0, v20, vcc_lo
	s_delay_alu instid0(VALU_DEP_2) | instskip(SKIP_1) | instid1(VALU_DEP_3)
	v_mul_lo_u32 v23, s5, v21
	v_mad_u64_u32 v[19:20], null, s4, v21, 0
	v_mul_lo_u32 v24, s4, v22
	s_delay_alu instid0(VALU_DEP_2) | instskip(NEXT) | instid1(VALU_DEP_2)
	v_sub_co_u32 v19, vcc_lo, v27, v19
	v_add3_u32 v20, v20, v24, v23
	s_delay_alu instid0(VALU_DEP_1) | instskip(NEXT) | instid1(VALU_DEP_1)
	v_sub_nc_u32_e32 v23, v25, v20
	v_subrev_co_ci_u32_e64 v23, s1, s5, v23, vcc_lo
	v_add_co_u32 v24, s1, v21, 2
	s_delay_alu instid0(VALU_DEP_1) | instskip(SKIP_3) | instid1(VALU_DEP_3)
	v_add_co_ci_u32_e64 v27, s1, 0, v22, s1
	v_sub_co_u32 v28, s1, v19, s4
	v_sub_co_ci_u32_e32 v20, vcc_lo, v25, v20, vcc_lo
	v_subrev_co_ci_u32_e64 v23, s1, 0, v23, s1
	v_cmp_le_u32_e32 vcc_lo, s4, v28
	s_delay_alu instid0(VALU_DEP_3) | instskip(SKIP_1) | instid1(VALU_DEP_4)
	v_cmp_eq_u32_e64 s1, s5, v20
	v_cndmask_b32_e64 v25, 0, -1, vcc_lo
	v_cmp_le_u32_e32 vcc_lo, s5, v23
	v_cndmask_b32_e64 v28, 0, -1, vcc_lo
	v_cmp_le_u32_e32 vcc_lo, s4, v19
	;; [unrolled: 2-line block ×3, first 2 shown]
	v_cndmask_b32_e64 v29, 0, -1, vcc_lo
	v_cmp_eq_u32_e32 vcc_lo, s5, v23
	s_delay_alu instid0(VALU_DEP_2) | instskip(SKIP_3) | instid1(VALU_DEP_3)
	v_cndmask_b32_e64 v19, v29, v19, s1
	v_cndmask_b32_e32 v23, v28, v25, vcc_lo
	v_add_co_u32 v25, vcc_lo, v21, 1
	v_add_co_ci_u32_e32 v28, vcc_lo, 0, v22, vcc_lo
	v_cmp_ne_u32_e32 vcc_lo, 0, v23
	s_delay_alu instid0(VALU_DEP_2) | instskip(SKIP_2) | instid1(VALU_DEP_3)
	v_dual_cndmask_b32 v20, v28, v27 :: v_dual_cndmask_b32 v23, v25, v24
	v_cmp_ne_u32_e32 vcc_lo, 0, v19
	v_xor_b32_e32 v19, s2, v26
	v_dual_cndmask_b32 v21, v21, v23 :: v_dual_cndmask_b32 v20, v22, v20
	v_xor_b32_e32 v22, s3, v26
	s_delay_alu instid0(VALU_DEP_2) | instskip(NEXT) | instid1(VALU_DEP_2)
	v_xor_b32_e32 v21, v21, v19
	v_xor_b32_e32 v20, v20, v22
	s_delay_alu instid0(VALU_DEP_2) | instskip(NEXT) | instid1(VALU_DEP_2)
	v_sub_co_u32 v19, vcc_lo, v21, v19
	v_sub_co_ci_u32_e32 v20, vcc_lo, v20, v22, vcc_lo
.LBB5_18:
	s_and_not1_saveexec_b32 s1, s14
	s_cbranch_execz .LBB5_20
; %bb.19:
	v_cvt_f32_u32_e32 v19, s8
	s_sub_i32 s2, 0, s8
	s_delay_alu instid0(VALU_DEP_1) | instskip(SKIP_2) | instid1(VALU_DEP_1)
	v_rcp_iflag_f32_e32 v19, v19
	s_waitcnt_depctr 0xfff
	v_mul_f32_e32 v19, 0x4f7ffffe, v19
	v_cvt_u32_f32_e32 v19, v19
	s_delay_alu instid0(VALU_DEP_1) | instskip(NEXT) | instid1(VALU_DEP_1)
	v_mul_lo_u32 v20, s2, v19
	v_mul_hi_u32 v20, v19, v20
	s_delay_alu instid0(VALU_DEP_1) | instskip(NEXT) | instid1(VALU_DEP_1)
	v_add_nc_u32_e32 v19, v19, v20
	v_mul_hi_u32 v19, v17, v19
	s_delay_alu instid0(VALU_DEP_1) | instskip(SKIP_1) | instid1(VALU_DEP_2)
	v_mul_lo_u32 v20, v19, s8
	v_add_nc_u32_e32 v21, 1, v19
	v_sub_nc_u32_e32 v20, v17, v20
	s_delay_alu instid0(VALU_DEP_1) | instskip(SKIP_1) | instid1(VALU_DEP_2)
	v_subrev_nc_u32_e32 v22, s8, v20
	v_cmp_le_u32_e32 vcc_lo, s8, v20
	v_dual_cndmask_b32 v20, v20, v22 :: v_dual_cndmask_b32 v19, v19, v21
	s_delay_alu instid0(VALU_DEP_1) | instskip(NEXT) | instid1(VALU_DEP_2)
	v_cmp_le_u32_e32 vcc_lo, s8, v20
	v_dual_mov_b32 v20, 0 :: v_dual_add_nc_u32 v21, 1, v19
	s_delay_alu instid0(VALU_DEP_1)
	v_cndmask_b32_e32 v19, v19, v21, vcc_lo
.LBB5_20:
	s_or_b32 exec_lo, exec_lo, s1
	v_and_b32_e32 v21, 0x7f800000, v1
	s_mov_b32 s1, exec_lo
                                        ; implicit-def: $vgpr34
	s_delay_alu instid0(VALU_DEP_1)
	v_cmpx_ne_u32_e32 0x7f800000, v21
	s_xor_b32 s1, exec_lo, s1
; %bb.21:
	v_bfe_u32 v21, v1, 16, 1
	s_delay_alu instid0(VALU_DEP_1)
	v_add3_u32 v34, v1, v21, 0x7fff
; %bb.22:
	s_and_not1_saveexec_b32 s1, s1
; %bb.23:
	v_and_b32_e32 v21, 0xffff, v1
	v_or_b32_e32 v22, 0x10000, v1
	s_delay_alu instid0(VALU_DEP_2) | instskip(NEXT) | instid1(VALU_DEP_2)
	v_cmp_eq_u32_e32 vcc_lo, 0, v21
	v_cndmask_b32_e32 v34, v22, v1, vcc_lo
; %bb.24:
	s_or_b32 exec_lo, exec_lo, s1
	v_and_b32_e32 v1, 0x7f800000, v2
	s_delay_alu instid0(VALU_DEP_2) | instskip(SKIP_1) | instid1(VALU_DEP_2)
	v_and_b32_e32 v36, 0xffff0000, v34
	s_mov_b32 s1, exec_lo
                                        ; implicit-def: $vgpr35
	v_cmpx_ne_u32_e32 0x7f800000, v1
	s_xor_b32 s1, exec_lo, s1
; %bb.25:
	v_bfe_u32 v1, v2, 16, 1
	s_delay_alu instid0(VALU_DEP_1)
	v_add3_u32 v35, v2, v1, 0x7fff
; %bb.26:
	s_and_not1_saveexec_b32 s1, s1
; %bb.27:
	v_and_b32_e32 v1, 0xffff, v2
	v_or_b32_e32 v21, 0x10000, v2
	s_delay_alu instid0(VALU_DEP_2) | instskip(NEXT) | instid1(VALU_DEP_2)
	v_cmp_eq_u32_e32 vcc_lo, 0, v1
	v_cndmask_b32_e32 v35, v21, v2, vcc_lo
; %bb.28:
	s_or_b32 exec_lo, exec_lo, s1
	v_and_b32_e32 v1, 0x7f800000, v3
	s_delay_alu instid0(VALU_DEP_2) | instskip(SKIP_1) | instid1(VALU_DEP_2)
	v_and_b32_e32 v33, 0xffff0000, v35
	s_mov_b32 s1, exec_lo
                                        ; implicit-def: $vgpr39
	v_cmpx_ne_u32_e32 0x7f800000, v1
	s_xor_b32 s1, exec_lo, s1
; %bb.29:
	v_bfe_u32 v1, v3, 16, 1
	s_delay_alu instid0(VALU_DEP_1)
	v_add3_u32 v39, v3, v1, 0x7fff
; %bb.30:
	s_and_not1_saveexec_b32 s1, s1
; %bb.31:
	v_and_b32_e32 v1, 0xffff, v3
	v_or_b32_e32 v2, 0x10000, v3
	s_delay_alu instid0(VALU_DEP_2) | instskip(NEXT) | instid1(VALU_DEP_2)
	v_cmp_eq_u32_e32 vcc_lo, 0, v1
	v_cndmask_b32_e32 v39, v2, v3, vcc_lo
; %bb.32:
	s_or_b32 exec_lo, exec_lo, s1
	v_and_b32_e32 v1, 0x7f800000, v4
	s_delay_alu instid0(VALU_DEP_2) | instskip(SKIP_1) | instid1(VALU_DEP_2)
	v_and_b32_e32 v32, 0xffff0000, v39
	s_mov_b32 s1, exec_lo
                                        ; implicit-def: $vgpr40
	v_cmpx_ne_u32_e32 0x7f800000, v1
	s_xor_b32 s1, exec_lo, s1
; %bb.33:
	v_bfe_u32 v1, v4, 16, 1
	s_delay_alu instid0(VALU_DEP_1)
	v_add3_u32 v40, v4, v1, 0x7fff
; %bb.34:
	s_and_not1_saveexec_b32 s1, s1
; %bb.35:
	v_and_b32_e32 v1, 0xffff, v4
	v_or_b32_e32 v2, 0x10000, v4
	s_delay_alu instid0(VALU_DEP_2) | instskip(NEXT) | instid1(VALU_DEP_2)
	v_cmp_eq_u32_e32 vcc_lo, 0, v1
	v_cndmask_b32_e32 v40, v2, v4, vcc_lo
; %bb.36:
	s_or_b32 exec_lo, exec_lo, s1
	v_and_b32_e32 v1, 0x7f800000, v5
	s_delay_alu instid0(VALU_DEP_2) | instskip(SKIP_1) | instid1(VALU_DEP_2)
	v_and_b32_e32 v31, 0xffff0000, v40
	s_mov_b32 s1, exec_lo
                                        ; implicit-def: $vgpr41
	v_cmpx_ne_u32_e32 0x7f800000, v1
	s_xor_b32 s1, exec_lo, s1
; %bb.37:
	v_bfe_u32 v1, v5, 16, 1
	s_delay_alu instid0(VALU_DEP_1)
	v_add3_u32 v41, v5, v1, 0x7fff
; %bb.38:
	s_and_not1_saveexec_b32 s1, s1
; %bb.39:
	v_and_b32_e32 v1, 0xffff, v5
	v_or_b32_e32 v2, 0x10000, v5
	s_delay_alu instid0(VALU_DEP_2) | instskip(NEXT) | instid1(VALU_DEP_2)
	v_cmp_eq_u32_e32 vcc_lo, 0, v1
	v_cndmask_b32_e32 v41, v2, v5, vcc_lo
; %bb.40:
	s_or_b32 exec_lo, exec_lo, s1
	v_and_b32_e32 v1, 0x7f800000, v6
	s_delay_alu instid0(VALU_DEP_2) | instskip(SKIP_1) | instid1(VALU_DEP_2)
	v_and_b32_e32 v30, 0xffff0000, v41
	s_mov_b32 s1, exec_lo
                                        ; implicit-def: $vgpr42
	v_cmpx_ne_u32_e32 0x7f800000, v1
	s_xor_b32 s1, exec_lo, s1
; %bb.41:
	v_bfe_u32 v1, v6, 16, 1
	s_delay_alu instid0(VALU_DEP_1)
	v_add3_u32 v42, v6, v1, 0x7fff
; %bb.42:
	s_and_not1_saveexec_b32 s1, s1
; %bb.43:
	v_and_b32_e32 v1, 0xffff, v6
	v_or_b32_e32 v2, 0x10000, v6
	s_delay_alu instid0(VALU_DEP_2) | instskip(NEXT) | instid1(VALU_DEP_2)
	v_cmp_eq_u32_e32 vcc_lo, 0, v1
	v_cndmask_b32_e32 v42, v2, v6, vcc_lo
; %bb.44:
	s_or_b32 exec_lo, exec_lo, s1
	v_and_b32_e32 v1, 0x7f800000, v7
	s_delay_alu instid0(VALU_DEP_2) | instskip(SKIP_1) | instid1(VALU_DEP_2)
	v_and_b32_e32 v29, 0xffff0000, v42
	s_mov_b32 s1, exec_lo
                                        ; implicit-def: $vgpr43
	v_cmpx_ne_u32_e32 0x7f800000, v1
	s_xor_b32 s1, exec_lo, s1
; %bb.45:
	v_bfe_u32 v1, v7, 16, 1
	s_delay_alu instid0(VALU_DEP_1)
	v_add3_u32 v43, v7, v1, 0x7fff
; %bb.46:
	s_and_not1_saveexec_b32 s1, s1
; %bb.47:
	v_and_b32_e32 v1, 0xffff, v7
	v_or_b32_e32 v2, 0x10000, v7
	s_delay_alu instid0(VALU_DEP_2) | instskip(NEXT) | instid1(VALU_DEP_2)
	v_cmp_eq_u32_e32 vcc_lo, 0, v1
	v_cndmask_b32_e32 v43, v2, v7, vcc_lo
; %bb.48:
	s_or_b32 exec_lo, exec_lo, s1
	v_and_b32_e32 v1, 0x7f800000, v8
	s_delay_alu instid0(VALU_DEP_2) | instskip(SKIP_1) | instid1(VALU_DEP_2)
	v_and_b32_e32 v26, 0xffff0000, v43
	s_mov_b32 s1, exec_lo
                                        ; implicit-def: $vgpr44
	v_cmpx_ne_u32_e32 0x7f800000, v1
	s_xor_b32 s1, exec_lo, s1
; %bb.49:
	v_bfe_u32 v1, v8, 16, 1
	s_delay_alu instid0(VALU_DEP_1)
	v_add3_u32 v44, v8, v1, 0x7fff
; %bb.50:
	s_and_not1_saveexec_b32 s1, s1
; %bb.51:
	v_and_b32_e32 v1, 0xffff, v8
	v_or_b32_e32 v2, 0x10000, v8
	s_delay_alu instid0(VALU_DEP_2) | instskip(NEXT) | instid1(VALU_DEP_2)
	v_cmp_eq_u32_e32 vcc_lo, 0, v1
	v_cndmask_b32_e32 v44, v2, v8, vcc_lo
; %bb.52:
	s_or_b32 exec_lo, exec_lo, s1
	v_and_b32_e32 v1, 0x7f800000, v9
	s_delay_alu instid0(VALU_DEP_2) | instskip(SKIP_1) | instid1(VALU_DEP_2)
	v_and_b32_e32 v28, 0xffff0000, v44
	s_mov_b32 s1, exec_lo
                                        ; implicit-def: $vgpr45
	v_cmpx_ne_u32_e32 0x7f800000, v1
	s_xor_b32 s1, exec_lo, s1
; %bb.53:
	v_bfe_u32 v1, v9, 16, 1
	s_delay_alu instid0(VALU_DEP_1)
	v_add3_u32 v45, v9, v1, 0x7fff
; %bb.54:
	s_and_not1_saveexec_b32 s1, s1
; %bb.55:
	v_and_b32_e32 v1, 0xffff, v9
	v_or_b32_e32 v2, 0x10000, v9
	s_delay_alu instid0(VALU_DEP_2) | instskip(NEXT) | instid1(VALU_DEP_2)
	v_cmp_eq_u32_e32 vcc_lo, 0, v1
	v_cndmask_b32_e32 v45, v2, v9, vcc_lo
; %bb.56:
	s_or_b32 exec_lo, exec_lo, s1
	v_and_b32_e32 v1, 0x7f800000, v10
	s_delay_alu instid0(VALU_DEP_2) | instskip(SKIP_1) | instid1(VALU_DEP_2)
	v_and_b32_e32 v27, 0xffff0000, v45
	s_mov_b32 s1, exec_lo
                                        ; implicit-def: $vgpr46
	v_cmpx_ne_u32_e32 0x7f800000, v1
	s_xor_b32 s1, exec_lo, s1
; %bb.57:
	v_bfe_u32 v1, v10, 16, 1
	s_delay_alu instid0(VALU_DEP_1)
	v_add3_u32 v46, v10, v1, 0x7fff
; %bb.58:
	s_and_not1_saveexec_b32 s1, s1
; %bb.59:
	v_and_b32_e32 v1, 0xffff, v10
	v_or_b32_e32 v2, 0x10000, v10
	s_delay_alu instid0(VALU_DEP_2) | instskip(NEXT) | instid1(VALU_DEP_2)
	v_cmp_eq_u32_e32 vcc_lo, 0, v1
	v_cndmask_b32_e32 v46, v2, v10, vcc_lo
; %bb.60:
	s_or_b32 exec_lo, exec_lo, s1
	v_and_b32_e32 v1, 0x7f800000, v11
	s_delay_alu instid0(VALU_DEP_2) | instskip(SKIP_1) | instid1(VALU_DEP_2)
	v_and_b32_e32 v25, 0xffff0000, v46
	s_mov_b32 s1, exec_lo
                                        ; implicit-def: $vgpr47
	v_cmpx_ne_u32_e32 0x7f800000, v1
	s_xor_b32 s1, exec_lo, s1
; %bb.61:
	v_bfe_u32 v1, v11, 16, 1
	s_delay_alu instid0(VALU_DEP_1)
	v_add3_u32 v47, v11, v1, 0x7fff
; %bb.62:
	s_and_not1_saveexec_b32 s1, s1
; %bb.63:
	v_and_b32_e32 v1, 0xffff, v11
	v_or_b32_e32 v2, 0x10000, v11
	s_delay_alu instid0(VALU_DEP_2) | instskip(NEXT) | instid1(VALU_DEP_2)
	v_cmp_eq_u32_e32 vcc_lo, 0, v1
	v_cndmask_b32_e32 v47, v2, v11, vcc_lo
; %bb.64:
	s_or_b32 exec_lo, exec_lo, s1
	v_and_b32_e32 v1, 0x7f800000, v12
	s_delay_alu instid0(VALU_DEP_2) | instskip(SKIP_1) | instid1(VALU_DEP_2)
	v_and_b32_e32 v24, 0xffff0000, v47
	s_mov_b32 s1, exec_lo
                                        ; implicit-def: $vgpr48
	v_cmpx_ne_u32_e32 0x7f800000, v1
	s_xor_b32 s1, exec_lo, s1
; %bb.65:
	v_bfe_u32 v1, v12, 16, 1
	s_delay_alu instid0(VALU_DEP_1)
	v_add3_u32 v48, v12, v1, 0x7fff
; %bb.66:
	s_and_not1_saveexec_b32 s1, s1
; %bb.67:
	v_and_b32_e32 v1, 0xffff, v12
	v_or_b32_e32 v2, 0x10000, v12
	s_delay_alu instid0(VALU_DEP_2) | instskip(NEXT) | instid1(VALU_DEP_2)
	v_cmp_eq_u32_e32 vcc_lo, 0, v1
	v_cndmask_b32_e32 v48, v2, v12, vcc_lo
; %bb.68:
	s_or_b32 exec_lo, exec_lo, s1
	v_and_b32_e32 v1, 0x7f800000, v13
	s_delay_alu instid0(VALU_DEP_2) | instskip(SKIP_1) | instid1(VALU_DEP_2)
	v_and_b32_e32 v23, 0xffff0000, v48
	s_mov_b32 s1, exec_lo
                                        ; implicit-def: $vgpr49
	v_cmpx_ne_u32_e32 0x7f800000, v1
	s_xor_b32 s1, exec_lo, s1
; %bb.69:
	v_bfe_u32 v1, v13, 16, 1
	s_delay_alu instid0(VALU_DEP_1)
	v_add3_u32 v49, v13, v1, 0x7fff
; %bb.70:
	s_and_not1_saveexec_b32 s1, s1
; %bb.71:
	v_and_b32_e32 v1, 0xffff, v13
	v_or_b32_e32 v2, 0x10000, v13
	s_delay_alu instid0(VALU_DEP_2) | instskip(NEXT) | instid1(VALU_DEP_2)
	v_cmp_eq_u32_e32 vcc_lo, 0, v1
	v_cndmask_b32_e32 v49, v2, v13, vcc_lo
; %bb.72:
	s_or_b32 exec_lo, exec_lo, s1
	v_and_b32_e32 v1, 0x7f800000, v14
	s_mov_b32 s1, exec_lo
                                        ; implicit-def: $vgpr50
	s_delay_alu instid0(VALU_DEP_1)
	v_cmpx_ne_u32_e32 0x7f800000, v1
	s_xor_b32 s1, exec_lo, s1
; %bb.73:
	v_bfe_u32 v1, v14, 16, 1
	s_delay_alu instid0(VALU_DEP_1)
	v_add3_u32 v50, v14, v1, 0x7fff
; %bb.74:
	s_and_not1_saveexec_b32 s1, s1
; %bb.75:
	v_and_b32_e32 v1, 0xffff, v14
	v_or_b32_e32 v2, 0x10000, v14
	s_delay_alu instid0(VALU_DEP_2) | instskip(NEXT) | instid1(VALU_DEP_2)
	v_cmp_eq_u32_e32 vcc_lo, 0, v1
	v_cndmask_b32_e32 v50, v2, v14, vcc_lo
; %bb.76:
	s_or_b32 exec_lo, exec_lo, s1
	v_and_b32_e32 v1, 0x7f800000, v15
	s_mov_b32 s1, exec_lo
                                        ; implicit-def: $vgpr51
	s_delay_alu instid0(VALU_DEP_1)
	v_cmpx_ne_u32_e32 0x7f800000, v1
	s_xor_b32 s1, exec_lo, s1
; %bb.77:
	v_bfe_u32 v1, v15, 16, 1
	s_delay_alu instid0(VALU_DEP_1)
	v_add3_u32 v51, v15, v1, 0x7fff
; %bb.78:
	s_and_not1_saveexec_b32 s1, s1
; %bb.79:
	v_and_b32_e32 v1, 0xffff, v15
	v_or_b32_e32 v2, 0x10000, v15
	s_delay_alu instid0(VALU_DEP_2) | instskip(NEXT) | instid1(VALU_DEP_2)
	v_cmp_eq_u32_e32 vcc_lo, 0, v1
	v_cndmask_b32_e32 v51, v2, v15, vcc_lo
; %bb.80:
	s_or_b32 exec_lo, exec_lo, s1
	v_and_b32_e32 v1, 0x7f800000, v16
	s_mov_b32 s1, exec_lo
                                        ; implicit-def: $vgpr52
	s_delay_alu instid0(VALU_DEP_1)
	v_cmpx_ne_u32_e32 0x7f800000, v1
	s_xor_b32 s1, exec_lo, s1
; %bb.81:
	v_bfe_u32 v1, v16, 16, 1
	s_delay_alu instid0(VALU_DEP_1)
	v_add3_u32 v52, v16, v1, 0x7fff
                                        ; implicit-def: $vgpr1_vgpr2_vgpr3_vgpr4_vgpr5_vgpr6_vgpr7_vgpr8_vgpr9_vgpr10_vgpr11_vgpr12_vgpr13_vgpr14_vgpr15_vgpr16
; %bb.82:
	s_and_not1_saveexec_b32 s1, s1
; %bb.83:
	v_and_b32_e32 v1, 0xffff, v16
	v_or_b32_e32 v2, 0x10000, v16
	s_delay_alu instid0(VALU_DEP_2) | instskip(NEXT) | instid1(VALU_DEP_2)
	v_cmp_eq_u32_e32 vcc_lo, 0, v1
	v_cndmask_b32_e32 v52, v2, v16, vcc_lo
; %bb.84:
	s_or_b32 exec_lo, exec_lo, s1
	v_max3_f32 v1, |v36|, 0, |v33|
	v_mbcnt_lo_u32_b32 v5, -1, 0
	v_and_b32_e32 v22, 0xffff0000, v49
	v_and_b32_e32 v16, 0xffff0000, v51
	v_mul_lo_u32 v6, v20, s8
	v_max3_f32 v1, v1, |v32|, |v31|
	v_xor_b32_e32 v2, 1, v5
	v_xor_b32_e32 v12, 2, v5
	v_mul_lo_u32 v8, v19, s16
	s_ashr_i32 s1, s15, 31
	v_max3_f32 v1, v1, |v30|, |v29|
	v_cmp_gt_i32_e32 vcc_lo, 32, v2
	v_and_b32_e32 v13, 0xffff0000, v52
	v_mad_u64_u32 v[3:4], null, v19, s15, s[10:11]
	s_delay_alu instid0(VALU_DEP_4)
	v_max3_f32 v1, v1, |v26|, |v28|
	v_cndmask_b32_e32 v2, v5, v2, vcc_lo
	v_cmp_gt_i32_e32 vcc_lo, 32, v12
	v_and_b32_e32 v21, 0xffff0000, v50
	v_mul_lo_u32 v10, v20, s15
	v_max3_f32 v1, v1, |v27|, |v25|
	v_mul_lo_u32 v11, v19, s1
	s_delay_alu instid0(VALU_DEP_2) | instskip(NEXT) | instid1(VALU_DEP_2)
	v_max3_f32 v1, v1, |v24|, |v23|
	v_add3_u32 v4, v10, v4, v11
	s_delay_alu instid0(VALU_DEP_2) | instskip(NEXT) | instid1(VALU_DEP_1)
	v_max3_f32 v1, v1, |v22|, |v21|
	v_max3_f32 v7, v1, |v16|, |v13|
	v_lshlrev_b32_e32 v2, 2, v2
	ds_bpermute_b32 v9, v2, v7
	v_mad_u64_u32 v[1:2], null, v19, s8, 0
	s_delay_alu instid0(VALU_DEP_1) | instskip(SKIP_1) | instid1(VALU_DEP_3)
	v_add3_u32 v2, v2, v8, v6
	v_cndmask_b32_e32 v8, v5, v12, vcc_lo
	v_sub_co_u32 v5, vcc_lo, v17, v1
	s_delay_alu instid0(VALU_DEP_3) | instskip(NEXT) | instid1(VALU_DEP_3)
	v_sub_co_ci_u32_e32 v6, vcc_lo, v18, v2, vcc_lo
	v_lshlrev_b32_e32 v8, 2, v8
	s_delay_alu instid0(VALU_DEP_3) | instskip(SKIP_2) | instid1(VALU_DEP_1)
	v_mad_u64_u32 v[1:2], null, 0x240, v5, v[3:4]
	s_waitcnt lgkmcnt(0)
	v_max_f32_e32 v9, v9, v9
	v_max_f32_e32 v7, v7, v9
	s_delay_alu instid0(VALU_DEP_3) | instskip(SKIP_3) | instid1(SALU_CYCLE_1)
	v_mad_u64_u32 v[9:10], null, 0x240, v6, v[2:3]
	ds_bpermute_b32 v8, v8, v7
	v_mov_b32_e32 v2, v9
	s_and_saveexec_b32 s1, s0
	s_xor_b32 s1, exec_lo, s1
	s_cbranch_execz .LBB5_378
; %bb.85:
	s_waitcnt lgkmcnt(0)
	v_max3_f32 v7, v7, v8, 0x38d1b717
	s_mov_b32 s0, 0xc3e00000
	s_delay_alu instid0(VALU_DEP_1) | instskip(SKIP_1) | instid1(VALU_DEP_2)
	v_div_scale_f32 v8, null, 0x43e00000, 0x43e00000, v7
	v_div_scale_f32 v11, vcc_lo, v7, 0x43e00000, v7
	v_rcp_f32_e32 v9, v8
	s_waitcnt_depctr 0xfff
	v_fma_f32 v10, -v8, v9, 1.0
	s_delay_alu instid0(VALU_DEP_1) | instskip(NEXT) | instid1(VALU_DEP_1)
	v_fmac_f32_e32 v9, v10, v9
	v_mul_f32_e32 v10, v11, v9
	s_delay_alu instid0(VALU_DEP_1) | instskip(NEXT) | instid1(VALU_DEP_1)
	v_fma_f32 v12, -v8, v10, v11
	v_fmac_f32_e32 v10, v12, v9
	s_delay_alu instid0(VALU_DEP_1) | instskip(NEXT) | instid1(VALU_DEP_1)
	v_fma_f32 v8, -v8, v10, v11
	v_div_fmas_f32 v8, v8, v9, v10
	s_delay_alu instid0(VALU_DEP_1) | instskip(NEXT) | instid1(VALU_DEP_1)
	v_div_fixup_f32 v7, v8, 0x43e00000, v7
	v_cmp_gt_f32_e32 vcc_lo, 0x800000, v7
	v_cndmask_b32_e64 v8, 1.0, 0x4f800000, vcc_lo
	s_delay_alu instid0(VALU_DEP_1) | instskip(SKIP_1) | instid1(VALU_DEP_2)
	v_mul_f32_e32 v7, v7, v8
	v_cndmask_b32_e64 v8, 0, 0x42000000, vcc_lo
	v_log_f32_e32 v7, v7
	s_waitcnt_depctr 0xfff
	v_sub_f32_e32 v7, v7, v8
	s_delay_alu instid0(VALU_DEP_1) | instskip(NEXT) | instid1(VALU_DEP_1)
	v_ceil_f32_e32 v11, v7
	v_cmp_lt_f32_e32 vcc_lo, 0x42fc0000, v11
	v_cndmask_b32_e64 v7, 0, 0x42800000, vcc_lo
	v_cndmask_b32_e64 v8, 1.0, 0x1f800000, vcc_lo
	s_delay_alu instid0(VALU_DEP_2) | instskip(NEXT) | instid1(VALU_DEP_1)
	v_sub_f32_e32 v7, v7, v11
	v_exp_f32_e32 v7, v7
	s_waitcnt_depctr 0xfff
	v_mul_f32_e32 v14, v7, v8
	s_delay_alu instid0(VALU_DEP_1) | instskip(NEXT) | instid1(VALU_DEP_1)
	v_dual_mov_b32 v8, 0 :: v_dual_mul_f32 v7, v14, v36
	v_mov_b32_e32 v18, v8
	s_delay_alu instid0(VALU_DEP_2) | instskip(SKIP_1) | instid1(VALU_DEP_1)
	v_maxmin_f32 v9, v7, s0, 0x43e00000
	s_mov_b32 s0, exec_lo
	v_lshrrev_b32_e32 v10, 24, v9
	v_and_b32_e32 v17, 0x7f800000, v9
	v_and_b32_e32 v7, 0x7fffff, v9
	s_delay_alu instid0(VALU_DEP_3) | instskip(NEXT) | instid1(VALU_DEP_1)
	v_and_b32_e32 v15, 0x80, v10
	v_or_b32_e32 v12, 0x7e, v15
	s_delay_alu instid0(VALU_DEP_4)
	v_cmpx_ne_u64_e32 0x7f800000, v[17:18]
	s_xor_b32 s2, exec_lo, s0
	s_cbranch_execz .LBB5_101
; %bb.86:
	v_dual_mov_b32 v18, v8 :: v_dual_and_b32 v17, 0x7fffffff, v9
	s_mov_b32 s0, exec_lo
	s_delay_alu instid0(VALU_DEP_1)
	v_cmpx_gt_u64_e32 0x43e00001, v[17:18]
	s_xor_b32 s3, exec_lo, s0
	s_cbranch_execz .LBB5_100
; %bb.87:
	v_mov_b32_e32 v12, 0
	s_mov_b32 s4, exec_lo
	v_cmpx_ne_u32_e32 0, v9
	s_cbranch_execz .LBB5_99
; %bb.88:
	v_bfe_u32 v12, v9, 23, 8
	v_or_b32_e32 v18, 0x800000, v7
	s_delay_alu instid0(VALU_DEP_2) | instskip(SKIP_1) | instid1(VALU_DEP_2)
	v_sub_nc_u32_e32 v9, 0x79, v12
	v_cmp_gt_u32_e32 vcc_lo, 0x7a, v12
	v_cndmask_b32_e32 v9, 0, v9, vcc_lo
	v_cmp_eq_u32_e32 vcc_lo, 0, v12
	s_delay_alu instid0(VALU_DEP_2) | instskip(NEXT) | instid1(VALU_DEP_1)
	v_cndmask_b32_e64 v17, v9, 0x78, vcc_lo
	v_dual_cndmask_b32 v7, v18, v7 :: v_dual_add_nc_u32 v18, 19, v17
	v_add_nc_u32_e32 v9, 20, v17
	s_delay_alu instid0(VALU_DEP_1) | instskip(NEXT) | instid1(VALU_DEP_1)
	v_lshlrev_b64 v[9:10], v9, -1
	v_not_b32_e32 v20, v9
	s_delay_alu instid0(VALU_DEP_2) | instskip(SKIP_1) | instid1(VALU_DEP_3)
	v_not_b32_e32 v19, v10
	v_lshlrev_b64 v[9:10], v18, 1
	v_and_b32_e32 v18, v7, v20
	v_lshrrev_b64 v[7:8], v17, v[7:8]
	s_delay_alu instid0(VALU_DEP_4) | instskip(NEXT) | instid1(VALU_DEP_1)
	v_and_b32_e32 v19, 0, v19
	v_cmp_eq_u64_e64 s0, v[18:19], v[9:10]
	s_delay_alu instid0(VALU_DEP_3) | instskip(NEXT) | instid1(VALU_DEP_2)
	v_dual_mov_b32 v10, v8 :: v_dual_mov_b32 v9, v7
	s_and_saveexec_b32 s5, s0
; %bb.89:
	v_bfe_u32 v9, v7, 20, 1
	s_delay_alu instid0(VALU_DEP_1) | instskip(NEXT) | instid1(VALU_DEP_1)
	v_add_co_u32 v9, s0, v7, v9
	v_add_co_u32 v9, s0, v9, -1
; %bb.90:
	s_or_b32 exec_lo, exec_lo, s5
	v_add_nc_u32_e32 v10, 0xffffff81, v12
	v_lshrrev_b32_e32 v12, 23, v7
	s_delay_alu instid0(VALU_DEP_3) | instskip(SKIP_1) | instid1(VALU_DEP_3)
	v_and_b32_e32 v9, 0xfffff, v9
	s_mov_b32 s0, exec_lo
	v_cndmask_b32_e64 v10, v10, 0xffffff82, vcc_lo
	s_delay_alu instid0(VALU_DEP_2) | instskip(SKIP_1) | instid1(VALU_DEP_3)
	v_add_co_u32 v7, vcc_lo, v9, v7
	v_add_co_ci_u32_e32 v8, vcc_lo, 0, v8, vcc_lo
	v_add3_u32 v10, v17, v10, v12
                                        ; implicit-def: $vgpr9
	s_delay_alu instid0(VALU_DEP_1) | instskip(NEXT) | instid1(VALU_DEP_1)
	v_add_nc_u32_e32 v12, 6, v10
	v_cmpx_ne_u32_e32 0, v12
	s_xor_b32 s0, exec_lo, s0
; %bb.91:
	v_cmp_lt_u64_e32 vcc_lo, 0xffffff, v[7:8]
	v_add_nc_u32_e32 v9, 7, v10
	v_cndmask_b32_e64 v10, 0, 1, vcc_lo
	s_delay_alu instid0(VALU_DEP_2) | instskip(NEXT) | instid1(VALU_DEP_2)
	v_cndmask_b32_e32 v9, v12, v9, vcc_lo
	v_lshrrev_b64 v[7:8], v10, v[7:8]
; %bb.92:
	s_and_not1_saveexec_b32 s0, s0
; %bb.93:
	s_delay_alu instid0(VALU_DEP_1)
	v_bfe_u32 v9, v7, 23, 1
; %bb.94:
	s_or_b32 exec_lo, exec_lo, s0
	s_delay_alu instid0(VALU_DEP_2) | instskip(NEXT) | instid1(VALU_DEP_2)
	v_lshrrev_b64 v[7:8], 20, v[7:8]
	v_cmp_gt_i32_e32 vcc_lo, 16, v9
	v_cmp_ne_u32_e64 s0, 0, v9
                                        ; implicit-def: $vgpr12
	s_delay_alu instid0(VALU_DEP_3) | instskip(NEXT) | instid1(VALU_DEP_1)
	v_dual_cndmask_b32 v8, 0, v8 :: v_dual_cndmask_b32 v7, 7, v7
	v_cmp_ne_u64_e32 vcc_lo, 0, v[7:8]
	s_delay_alu instid0(VALU_DEP_3) | instskip(NEXT) | instid1(SALU_CYCLE_1)
	s_or_b32 s0, s0, vcc_lo
	s_and_saveexec_b32 s5, s0
	s_delay_alu instid0(SALU_CYCLE_1)
	s_xor_b32 s0, exec_lo, s5
; %bb.95:
	v_min_i32_e32 v8, 15, v9
	s_delay_alu instid0(VALU_DEP_1) | instskip(NEXT) | instid1(VALU_DEP_1)
	v_lshl_or_b32 v8, v8, 3, v15
                                        ; implicit-def: $vgpr15
	v_and_or_b32 v12, v7, 7, v8
; %bb.96:
	s_and_not1_saveexec_b32 s0, s0
; %bb.97:
	v_mov_b32_e32 v12, v15
; %bb.98:
	s_or_b32 exec_lo, exec_lo, s0
.LBB5_99:
	s_delay_alu instid0(SALU_CYCLE_1)
	s_or_b32 exec_lo, exec_lo, s4
.LBB5_100:
	s_and_not1_saveexec_b32 s0, s3
	s_delay_alu instid0(SALU_CYCLE_1)
	s_or_b32 exec_lo, exec_lo, s0
                                        ; implicit-def: $vgpr10
                                        ; implicit-def: $vgpr7_vgpr8
.LBB5_101:
	s_and_not1_saveexec_b32 s0, s2
; %bb.102:
	v_cmp_eq_u64_e32 vcc_lo, 0, v[7:8]
	v_or_b32_e32 v9, 0x7f, v10
	s_delay_alu instid0(VALU_DEP_1)
	v_cndmask_b32_e32 v12, v9, v12, vcc_lo
; %bb.103:
	s_or_b32 exec_lo, exec_lo, s0
	v_dual_mul_f32 v7, v14, v33 :: v_dual_mov_b32 v8, 0
	s_mov_b32 s0, 0xc3e00000
	s_delay_alu instid0(VALU_DEP_1) | instid1(SALU_CYCLE_1)
	v_maxmin_f32 v9, v7, s0, 0x43e00000
	s_mov_b32 s0, exec_lo
	s_delay_alu instid0(VALU_DEP_2) | instskip(NEXT) | instid1(VALU_DEP_2)
	v_mov_b32_e32 v19, v8
	v_lshrrev_b32_e32 v10, 24, v9
	v_and_b32_e32 v18, 0x7f800000, v9
	v_and_b32_e32 v7, 0x7fffff, v9
	s_delay_alu instid0(VALU_DEP_3) | instskip(NEXT) | instid1(VALU_DEP_1)
	v_and_b32_e32 v17, 0x80, v10
	v_or_b32_e32 v15, 0x7e, v17
	s_delay_alu instid0(VALU_DEP_4)
	v_cmpx_ne_u64_e32 0x7f800000, v[18:19]
	s_xor_b32 s2, exec_lo, s0
	s_cbranch_execz .LBB5_119
; %bb.104:
	v_dual_mov_b32 v19, v8 :: v_dual_and_b32 v18, 0x7fffffff, v9
	s_mov_b32 s0, exec_lo
	s_delay_alu instid0(VALU_DEP_1)
	v_cmpx_gt_u64_e32 0x43e00001, v[18:19]
	s_xor_b32 s3, exec_lo, s0
	s_cbranch_execz .LBB5_118
; %bb.105:
	v_mov_b32_e32 v15, 0
	s_mov_b32 s4, exec_lo
	v_cmpx_ne_u32_e32 0, v9
	s_cbranch_execz .LBB5_117
; %bb.106:
	v_bfe_u32 v15, v9, 23, 8
	v_or_b32_e32 v19, 0x800000, v7
	s_delay_alu instid0(VALU_DEP_2) | instskip(SKIP_1) | instid1(VALU_DEP_2)
	v_sub_nc_u32_e32 v9, 0x79, v15
	v_cmp_gt_u32_e32 vcc_lo, 0x7a, v15
	v_cndmask_b32_e32 v9, 0, v9, vcc_lo
	v_cmp_eq_u32_e32 vcc_lo, 0, v15
	s_delay_alu instid0(VALU_DEP_2) | instskip(SKIP_1) | instid1(VALU_DEP_2)
	v_cndmask_b32_e64 v18, v9, 0x78, vcc_lo
	v_cndmask_b32_e32 v7, v19, v7, vcc_lo
	v_add_nc_u32_e32 v9, 20, v18
	v_add_nc_u32_e32 v19, 19, v18
	s_delay_alu instid0(VALU_DEP_2) | instskip(NEXT) | instid1(VALU_DEP_1)
	v_lshlrev_b64 v[9:10], v9, -1
	v_not_b32_e32 v33, v9
	s_delay_alu instid0(VALU_DEP_2) | instskip(NEXT) | instid1(VALU_DEP_4)
	v_not_b32_e32 v20, v10
	v_lshlrev_b64 v[9:10], v19, 1
	s_delay_alu instid0(VALU_DEP_3) | instskip(SKIP_1) | instid1(VALU_DEP_4)
	v_and_b32_e32 v19, v7, v33
	v_lshrrev_b64 v[7:8], v18, v[7:8]
	v_and_b32_e32 v20, 0, v20
	s_delay_alu instid0(VALU_DEP_1) | instskip(NEXT) | instid1(VALU_DEP_3)
	v_cmp_eq_u64_e64 s0, v[19:20], v[9:10]
	v_dual_mov_b32 v10, v8 :: v_dual_mov_b32 v9, v7
	s_delay_alu instid0(VALU_DEP_2)
	s_and_saveexec_b32 s5, s0
; %bb.107:
	v_bfe_u32 v9, v7, 20, 1
	s_delay_alu instid0(VALU_DEP_1) | instskip(NEXT) | instid1(VALU_DEP_1)
	v_add_co_u32 v9, s0, v7, v9
	v_add_co_u32 v9, s0, v9, -1
; %bb.108:
	s_or_b32 exec_lo, exec_lo, s5
	v_add_nc_u32_e32 v10, 0xffffff81, v15
	v_lshrrev_b32_e32 v15, 23, v7
	s_delay_alu instid0(VALU_DEP_3) | instskip(SKIP_1) | instid1(VALU_DEP_3)
	v_and_b32_e32 v9, 0xfffff, v9
	s_mov_b32 s0, exec_lo
	v_cndmask_b32_e64 v10, v10, 0xffffff82, vcc_lo
	s_delay_alu instid0(VALU_DEP_2) | instskip(SKIP_1) | instid1(VALU_DEP_3)
	v_add_co_u32 v7, vcc_lo, v9, v7
	v_add_co_ci_u32_e32 v8, vcc_lo, 0, v8, vcc_lo
	v_add3_u32 v10, v18, v10, v15
                                        ; implicit-def: $vgpr9
	s_delay_alu instid0(VALU_DEP_1) | instskip(NEXT) | instid1(VALU_DEP_1)
	v_add_nc_u32_e32 v15, 6, v10
	v_cmpx_ne_u32_e32 0, v15
	s_xor_b32 s0, exec_lo, s0
; %bb.109:
	v_cmp_lt_u64_e32 vcc_lo, 0xffffff, v[7:8]
	v_add_nc_u32_e32 v9, 7, v10
	v_cndmask_b32_e64 v10, 0, 1, vcc_lo
	s_delay_alu instid0(VALU_DEP_2) | instskip(NEXT) | instid1(VALU_DEP_2)
	v_cndmask_b32_e32 v9, v15, v9, vcc_lo
	v_lshrrev_b64 v[7:8], v10, v[7:8]
; %bb.110:
	s_and_not1_saveexec_b32 s0, s0
; %bb.111:
	s_delay_alu instid0(VALU_DEP_1)
	v_bfe_u32 v9, v7, 23, 1
; %bb.112:
	s_or_b32 exec_lo, exec_lo, s0
	s_delay_alu instid0(VALU_DEP_2) | instskip(NEXT) | instid1(VALU_DEP_2)
	v_lshrrev_b64 v[7:8], 20, v[7:8]
	v_cmp_gt_i32_e32 vcc_lo, 16, v9
	v_cmp_ne_u32_e64 s0, 0, v9
                                        ; implicit-def: $vgpr15
	s_delay_alu instid0(VALU_DEP_3) | instskip(NEXT) | instid1(VALU_DEP_1)
	v_dual_cndmask_b32 v8, 0, v8 :: v_dual_cndmask_b32 v7, 7, v7
	v_cmp_ne_u64_e32 vcc_lo, 0, v[7:8]
	s_delay_alu instid0(VALU_DEP_3) | instskip(NEXT) | instid1(SALU_CYCLE_1)
	s_or_b32 s0, s0, vcc_lo
	s_and_saveexec_b32 s5, s0
	s_delay_alu instid0(SALU_CYCLE_1)
	s_xor_b32 s0, exec_lo, s5
; %bb.113:
	v_min_i32_e32 v8, 15, v9
	s_delay_alu instid0(VALU_DEP_1) | instskip(NEXT) | instid1(VALU_DEP_1)
	v_lshl_or_b32 v8, v8, 3, v17
                                        ; implicit-def: $vgpr17
	v_and_or_b32 v15, v7, 7, v8
; %bb.114:
	s_and_not1_saveexec_b32 s0, s0
; %bb.115:
	v_mov_b32_e32 v15, v17
; %bb.116:
	s_or_b32 exec_lo, exec_lo, s0
.LBB5_117:
	s_delay_alu instid0(SALU_CYCLE_1)
	s_or_b32 exec_lo, exec_lo, s4
.LBB5_118:
	s_and_not1_saveexec_b32 s0, s3
	s_delay_alu instid0(SALU_CYCLE_1)
	s_or_b32 exec_lo, exec_lo, s0
                                        ; implicit-def: $vgpr10
                                        ; implicit-def: $vgpr7_vgpr8
.LBB5_119:
	s_and_not1_saveexec_b32 s0, s2
; %bb.120:
	v_cmp_eq_u64_e32 vcc_lo, 0, v[7:8]
	v_or_b32_e32 v9, 0x7f, v10
	s_delay_alu instid0(VALU_DEP_1)
	v_cndmask_b32_e32 v15, v9, v15, vcc_lo
; %bb.121:
	s_or_b32 exec_lo, exec_lo, s0
	v_dual_mul_f32 v7, v14, v32 :: v_dual_mov_b32 v8, 0
	s_mov_b32 s0, 0xc3e00000
	s_delay_alu instid0(VALU_DEP_1) | instid1(SALU_CYCLE_1)
	v_maxmin_f32 v9, v7, s0, 0x43e00000
	s_mov_b32 s0, exec_lo
	s_delay_alu instid0(VALU_DEP_2) | instskip(NEXT) | instid1(VALU_DEP_2)
	v_mov_b32_e32 v20, v8
	v_lshrrev_b32_e32 v10, 24, v9
	v_and_b32_e32 v19, 0x7f800000, v9
	v_and_b32_e32 v7, 0x7fffff, v9
	s_delay_alu instid0(VALU_DEP_3) | instskip(NEXT) | instid1(VALU_DEP_1)
	v_and_b32_e32 v18, 0x80, v10
	v_or_b32_e32 v17, 0x7e, v18
	s_delay_alu instid0(VALU_DEP_4)
	v_cmpx_ne_u64_e32 0x7f800000, v[19:20]
	s_xor_b32 s2, exec_lo, s0
	s_cbranch_execz .LBB5_137
; %bb.122:
	v_dual_mov_b32 v20, v8 :: v_dual_and_b32 v19, 0x7fffffff, v9
	s_mov_b32 s0, exec_lo
	s_delay_alu instid0(VALU_DEP_1)
	v_cmpx_gt_u64_e32 0x43e00001, v[19:20]
	s_xor_b32 s3, exec_lo, s0
	s_cbranch_execz .LBB5_136
; %bb.123:
	v_mov_b32_e32 v17, 0
	s_mov_b32 s4, exec_lo
	v_cmpx_ne_u32_e32 0, v9
	s_cbranch_execz .LBB5_135
; %bb.124:
	v_bfe_u32 v17, v9, 23, 8
	v_or_b32_e32 v20, 0x800000, v7
	s_delay_alu instid0(VALU_DEP_2) | instskip(SKIP_1) | instid1(VALU_DEP_2)
	v_sub_nc_u32_e32 v9, 0x79, v17
	v_cmp_gt_u32_e32 vcc_lo, 0x7a, v17
	v_cndmask_b32_e32 v9, 0, v9, vcc_lo
	v_cmp_eq_u32_e32 vcc_lo, 0, v17
	s_delay_alu instid0(VALU_DEP_2) | instskip(SKIP_1) | instid1(VALU_DEP_2)
	v_cndmask_b32_e64 v19, v9, 0x78, vcc_lo
	v_cndmask_b32_e32 v7, v20, v7, vcc_lo
	v_add_nc_u32_e32 v20, 19, v19
	v_add_nc_u32_e32 v9, 20, v19
	s_delay_alu instid0(VALU_DEP_1) | instskip(NEXT) | instid1(VALU_DEP_1)
	v_lshlrev_b64 v[9:10], v9, -1
	v_not_b32_e32 v32, v10
	s_delay_alu instid0(VALU_DEP_2) | instskip(SKIP_1) | instid1(VALU_DEP_3)
	v_not_b32_e32 v34, v9
	v_lshlrev_b64 v[9:10], v20, 1
	v_and_b32_e32 v33, 0, v32
	s_delay_alu instid0(VALU_DEP_3) | instskip(SKIP_1) | instid1(VALU_DEP_2)
	v_and_b32_e32 v32, v7, v34
	v_lshrrev_b64 v[7:8], v19, v[7:8]
	v_cmp_eq_u64_e64 s0, v[32:33], v[9:10]
	s_delay_alu instid0(VALU_DEP_2) | instskip(NEXT) | instid1(VALU_DEP_2)
	v_dual_mov_b32 v10, v8 :: v_dual_mov_b32 v9, v7
	s_and_saveexec_b32 s5, s0
; %bb.125:
	v_bfe_u32 v9, v7, 20, 1
	s_delay_alu instid0(VALU_DEP_1) | instskip(NEXT) | instid1(VALU_DEP_1)
	v_add_co_u32 v9, s0, v7, v9
	v_add_co_u32 v9, s0, v9, -1
; %bb.126:
	s_or_b32 exec_lo, exec_lo, s5
	v_add_nc_u32_e32 v10, 0xffffff81, v17
	v_lshrrev_b32_e32 v17, 23, v7
	s_delay_alu instid0(VALU_DEP_3) | instskip(SKIP_1) | instid1(VALU_DEP_3)
	v_and_b32_e32 v9, 0xfffff, v9
	s_mov_b32 s0, exec_lo
	v_cndmask_b32_e64 v10, v10, 0xffffff82, vcc_lo
	s_delay_alu instid0(VALU_DEP_2) | instskip(SKIP_1) | instid1(VALU_DEP_3)
	v_add_co_u32 v7, vcc_lo, v9, v7
	v_add_co_ci_u32_e32 v8, vcc_lo, 0, v8, vcc_lo
	v_add3_u32 v10, v19, v10, v17
                                        ; implicit-def: $vgpr9
	s_delay_alu instid0(VALU_DEP_1) | instskip(NEXT) | instid1(VALU_DEP_1)
	v_add_nc_u32_e32 v17, 6, v10
	v_cmpx_ne_u32_e32 0, v17
	s_xor_b32 s0, exec_lo, s0
; %bb.127:
	v_cmp_lt_u64_e32 vcc_lo, 0xffffff, v[7:8]
	v_add_nc_u32_e32 v9, 7, v10
	v_cndmask_b32_e64 v10, 0, 1, vcc_lo
	s_delay_alu instid0(VALU_DEP_2) | instskip(NEXT) | instid1(VALU_DEP_2)
	v_cndmask_b32_e32 v9, v17, v9, vcc_lo
	v_lshrrev_b64 v[7:8], v10, v[7:8]
; %bb.128:
	s_and_not1_saveexec_b32 s0, s0
; %bb.129:
	s_delay_alu instid0(VALU_DEP_1)
	v_bfe_u32 v9, v7, 23, 1
; %bb.130:
	s_or_b32 exec_lo, exec_lo, s0
	s_delay_alu instid0(VALU_DEP_2) | instskip(NEXT) | instid1(VALU_DEP_2)
	v_lshrrev_b64 v[7:8], 20, v[7:8]
	v_cmp_gt_i32_e32 vcc_lo, 16, v9
	v_cmp_ne_u32_e64 s0, 0, v9
                                        ; implicit-def: $vgpr17
	s_delay_alu instid0(VALU_DEP_3) | instskip(NEXT) | instid1(VALU_DEP_1)
	v_dual_cndmask_b32 v8, 0, v8 :: v_dual_cndmask_b32 v7, 7, v7
	v_cmp_ne_u64_e32 vcc_lo, 0, v[7:8]
	s_delay_alu instid0(VALU_DEP_3) | instskip(NEXT) | instid1(SALU_CYCLE_1)
	s_or_b32 s0, s0, vcc_lo
	s_and_saveexec_b32 s5, s0
	s_delay_alu instid0(SALU_CYCLE_1)
	s_xor_b32 s0, exec_lo, s5
; %bb.131:
	v_min_i32_e32 v8, 15, v9
	s_delay_alu instid0(VALU_DEP_1) | instskip(NEXT) | instid1(VALU_DEP_1)
	v_lshl_or_b32 v8, v8, 3, v18
                                        ; implicit-def: $vgpr18
	v_and_or_b32 v17, v7, 7, v8
; %bb.132:
	s_and_not1_saveexec_b32 s0, s0
; %bb.133:
	v_mov_b32_e32 v17, v18
; %bb.134:
	s_or_b32 exec_lo, exec_lo, s0
.LBB5_135:
	s_delay_alu instid0(SALU_CYCLE_1)
	s_or_b32 exec_lo, exec_lo, s4
.LBB5_136:
	s_and_not1_saveexec_b32 s0, s3
	s_delay_alu instid0(SALU_CYCLE_1)
	s_or_b32 exec_lo, exec_lo, s0
                                        ; implicit-def: $vgpr10
                                        ; implicit-def: $vgpr7_vgpr8
.LBB5_137:
	s_and_not1_saveexec_b32 s0, s2
; %bb.138:
	v_cmp_eq_u64_e32 vcc_lo, 0, v[7:8]
	v_or_b32_e32 v9, 0x7f, v10
	s_delay_alu instid0(VALU_DEP_1)
	v_cndmask_b32_e32 v17, v9, v17, vcc_lo
; %bb.139:
	s_or_b32 exec_lo, exec_lo, s0
	v_dual_mul_f32 v7, v14, v31 :: v_dual_mov_b32 v8, 0
	s_mov_b32 s0, 0xc3e00000
	s_delay_alu instid0(VALU_DEP_1) | instid1(SALU_CYCLE_1)
	v_maxmin_f32 v9, v7, s0, 0x43e00000
	s_mov_b32 s0, exec_lo
	s_delay_alu instid0(VALU_DEP_2) | instskip(NEXT) | instid1(VALU_DEP_2)
	v_mov_b32_e32 v32, v8
	v_lshrrev_b32_e32 v10, 24, v9
	v_and_b32_e32 v31, 0x7f800000, v9
	v_and_b32_e32 v7, 0x7fffff, v9
	s_delay_alu instid0(VALU_DEP_3) | instskip(NEXT) | instid1(VALU_DEP_1)
	v_and_b32_e32 v19, 0x80, v10
	v_or_b32_e32 v18, 0x7e, v19
	s_delay_alu instid0(VALU_DEP_4)
	v_cmpx_ne_u64_e32 0x7f800000, v[31:32]
	s_xor_b32 s2, exec_lo, s0
	s_cbranch_execz .LBB5_155
; %bb.140:
	v_dual_mov_b32 v32, v8 :: v_dual_and_b32 v31, 0x7fffffff, v9
	s_mov_b32 s0, exec_lo
	s_delay_alu instid0(VALU_DEP_1)
	v_cmpx_gt_u64_e32 0x43e00001, v[31:32]
	s_xor_b32 s3, exec_lo, s0
	s_cbranch_execz .LBB5_154
; %bb.141:
	v_mov_b32_e32 v18, 0
	s_mov_b32 s4, exec_lo
	v_cmpx_ne_u32_e32 0, v9
	s_cbranch_execz .LBB5_153
; %bb.142:
	v_bfe_u32 v18, v9, 23, 8
	v_or_b32_e32 v31, 0x800000, v7
	s_delay_alu instid0(VALU_DEP_2) | instskip(SKIP_1) | instid1(VALU_DEP_2)
	v_sub_nc_u32_e32 v9, 0x79, v18
	v_cmp_gt_u32_e32 vcc_lo, 0x7a, v18
	v_cndmask_b32_e32 v9, 0, v9, vcc_lo
	v_cmp_eq_u32_e32 vcc_lo, 0, v18
	s_delay_alu instid0(VALU_DEP_2) | instskip(SKIP_1) | instid1(VALU_DEP_2)
	v_cndmask_b32_e64 v20, v9, 0x78, vcc_lo
	v_cndmask_b32_e32 v7, v31, v7, vcc_lo
	v_add_nc_u32_e32 v9, 20, v20
	v_add_nc_u32_e32 v31, 19, v20
	s_delay_alu instid0(VALU_DEP_2) | instskip(NEXT) | instid1(VALU_DEP_1)
	v_lshlrev_b64 v[9:10], v9, -1
	v_not_b32_e32 v33, v9
	s_delay_alu instid0(VALU_DEP_2) | instskip(NEXT) | instid1(VALU_DEP_4)
	v_not_b32_e32 v32, v10
	v_lshlrev_b64 v[9:10], v31, 1
	s_delay_alu instid0(VALU_DEP_3) | instskip(SKIP_1) | instid1(VALU_DEP_4)
	v_and_b32_e32 v31, v7, v33
	v_lshrrev_b64 v[7:8], v20, v[7:8]
	v_and_b32_e32 v32, 0, v32
	s_delay_alu instid0(VALU_DEP_1) | instskip(NEXT) | instid1(VALU_DEP_3)
	v_cmp_eq_u64_e64 s0, v[31:32], v[9:10]
	v_dual_mov_b32 v10, v8 :: v_dual_mov_b32 v9, v7
	s_delay_alu instid0(VALU_DEP_2)
	s_and_saveexec_b32 s5, s0
; %bb.143:
	v_bfe_u32 v9, v7, 20, 1
	s_delay_alu instid0(VALU_DEP_1) | instskip(NEXT) | instid1(VALU_DEP_1)
	v_add_co_u32 v9, s0, v7, v9
	v_add_co_u32 v9, s0, v9, -1
; %bb.144:
	s_or_b32 exec_lo, exec_lo, s5
	v_add_nc_u32_e32 v10, 0xffffff81, v18
	v_lshrrev_b32_e32 v18, 23, v7
	s_delay_alu instid0(VALU_DEP_3) | instskip(SKIP_1) | instid1(VALU_DEP_3)
	v_and_b32_e32 v9, 0xfffff, v9
	s_mov_b32 s0, exec_lo
	v_cndmask_b32_e64 v10, v10, 0xffffff82, vcc_lo
	s_delay_alu instid0(VALU_DEP_2) | instskip(SKIP_1) | instid1(VALU_DEP_3)
	v_add_co_u32 v7, vcc_lo, v9, v7
	v_add_co_ci_u32_e32 v8, vcc_lo, 0, v8, vcc_lo
	v_add3_u32 v10, v20, v10, v18
                                        ; implicit-def: $vgpr9
	s_delay_alu instid0(VALU_DEP_1) | instskip(NEXT) | instid1(VALU_DEP_1)
	v_add_nc_u32_e32 v18, 6, v10
	v_cmpx_ne_u32_e32 0, v18
	s_xor_b32 s0, exec_lo, s0
; %bb.145:
	v_cmp_lt_u64_e32 vcc_lo, 0xffffff, v[7:8]
	v_add_nc_u32_e32 v9, 7, v10
	v_cndmask_b32_e64 v10, 0, 1, vcc_lo
	s_delay_alu instid0(VALU_DEP_2) | instskip(NEXT) | instid1(VALU_DEP_2)
	v_cndmask_b32_e32 v9, v18, v9, vcc_lo
	v_lshrrev_b64 v[7:8], v10, v[7:8]
; %bb.146:
	s_and_not1_saveexec_b32 s0, s0
; %bb.147:
	s_delay_alu instid0(VALU_DEP_1)
	v_bfe_u32 v9, v7, 23, 1
; %bb.148:
	s_or_b32 exec_lo, exec_lo, s0
	s_delay_alu instid0(VALU_DEP_2) | instskip(NEXT) | instid1(VALU_DEP_2)
	v_lshrrev_b64 v[7:8], 20, v[7:8]
	v_cmp_gt_i32_e32 vcc_lo, 16, v9
	v_cmp_ne_u32_e64 s0, 0, v9
                                        ; implicit-def: $vgpr18
	s_delay_alu instid0(VALU_DEP_3) | instskip(NEXT) | instid1(VALU_DEP_1)
	v_dual_cndmask_b32 v8, 0, v8 :: v_dual_cndmask_b32 v7, 7, v7
	v_cmp_ne_u64_e32 vcc_lo, 0, v[7:8]
	s_delay_alu instid0(VALU_DEP_3) | instskip(NEXT) | instid1(SALU_CYCLE_1)
	s_or_b32 s0, s0, vcc_lo
	s_and_saveexec_b32 s5, s0
	s_delay_alu instid0(SALU_CYCLE_1)
	s_xor_b32 s0, exec_lo, s5
; %bb.149:
	v_min_i32_e32 v8, 15, v9
	s_delay_alu instid0(VALU_DEP_1) | instskip(NEXT) | instid1(VALU_DEP_1)
	v_lshl_or_b32 v8, v8, 3, v19
                                        ; implicit-def: $vgpr19
	v_and_or_b32 v18, v7, 7, v8
; %bb.150:
	s_and_not1_saveexec_b32 s0, s0
; %bb.151:
	v_mov_b32_e32 v18, v19
; %bb.152:
	s_or_b32 exec_lo, exec_lo, s0
.LBB5_153:
	s_delay_alu instid0(SALU_CYCLE_1)
	s_or_b32 exec_lo, exec_lo, s4
.LBB5_154:
	s_and_not1_saveexec_b32 s0, s3
	s_delay_alu instid0(SALU_CYCLE_1)
	s_or_b32 exec_lo, exec_lo, s0
                                        ; implicit-def: $vgpr10
                                        ; implicit-def: $vgpr7_vgpr8
.LBB5_155:
	s_and_not1_saveexec_b32 s0, s2
; %bb.156:
	v_cmp_eq_u64_e32 vcc_lo, 0, v[7:8]
	v_or_b32_e32 v9, 0x7f, v10
	s_delay_alu instid0(VALU_DEP_1)
	v_cndmask_b32_e32 v18, v9, v18, vcc_lo
; %bb.157:
	s_or_b32 exec_lo, exec_lo, s0
	v_dual_mul_f32 v7, v14, v30 :: v_dual_mov_b32 v8, 0
	s_mov_b32 s0, 0xc3e00000
	s_delay_alu instid0(VALU_DEP_1) | instid1(SALU_CYCLE_1)
	v_maxmin_f32 v9, v7, s0, 0x43e00000
	s_mov_b32 s0, exec_lo
	s_delay_alu instid0(VALU_DEP_2) | instskip(NEXT) | instid1(VALU_DEP_2)
	v_mov_b32_e32 v31, v8
	v_lshrrev_b32_e32 v10, 24, v9
	v_and_b32_e32 v30, 0x7f800000, v9
	v_and_b32_e32 v7, 0x7fffff, v9
	s_delay_alu instid0(VALU_DEP_3) | instskip(NEXT) | instid1(VALU_DEP_1)
	v_and_b32_e32 v20, 0x80, v10
	v_or_b32_e32 v19, 0x7e, v20
	s_delay_alu instid0(VALU_DEP_4)
	v_cmpx_ne_u64_e32 0x7f800000, v[30:31]
	s_xor_b32 s2, exec_lo, s0
	s_cbranch_execz .LBB5_173
; %bb.158:
	v_dual_mov_b32 v31, v8 :: v_dual_and_b32 v30, 0x7fffffff, v9
	s_mov_b32 s0, exec_lo
	s_delay_alu instid0(VALU_DEP_1)
	v_cmpx_gt_u64_e32 0x43e00001, v[30:31]
	s_xor_b32 s3, exec_lo, s0
	s_cbranch_execz .LBB5_172
; %bb.159:
	v_mov_b32_e32 v19, 0
	s_mov_b32 s4, exec_lo
	v_cmpx_ne_u32_e32 0, v9
	s_cbranch_execz .LBB5_171
; %bb.160:
	v_bfe_u32 v19, v9, 23, 8
	v_or_b32_e32 v31, 0x800000, v7
	s_delay_alu instid0(VALU_DEP_2) | instskip(SKIP_1) | instid1(VALU_DEP_2)
	v_sub_nc_u32_e32 v9, 0x79, v19
	v_cmp_gt_u32_e32 vcc_lo, 0x7a, v19
	v_cndmask_b32_e32 v9, 0, v9, vcc_lo
	v_cmp_eq_u32_e32 vcc_lo, 0, v19
	s_delay_alu instid0(VALU_DEP_2) | instskip(SKIP_1) | instid1(VALU_DEP_2)
	v_cndmask_b32_e64 v30, v9, 0x78, vcc_lo
	v_cndmask_b32_e32 v7, v31, v7, vcc_lo
	v_add_nc_u32_e32 v9, 20, v30
	v_add_nc_u32_e32 v31, 19, v30
	s_delay_alu instid0(VALU_DEP_2) | instskip(NEXT) | instid1(VALU_DEP_1)
	v_lshlrev_b64 v[9:10], v9, -1
	v_not_b32_e32 v33, v9
	s_delay_alu instid0(VALU_DEP_2) | instskip(NEXT) | instid1(VALU_DEP_4)
	v_not_b32_e32 v32, v10
	v_lshlrev_b64 v[9:10], v31, 1
	s_delay_alu instid0(VALU_DEP_3) | instskip(SKIP_1) | instid1(VALU_DEP_4)
	v_and_b32_e32 v31, v7, v33
	v_lshrrev_b64 v[7:8], v30, v[7:8]
	v_and_b32_e32 v32, 0, v32
	s_delay_alu instid0(VALU_DEP_1) | instskip(NEXT) | instid1(VALU_DEP_3)
	v_cmp_eq_u64_e64 s0, v[31:32], v[9:10]
	v_dual_mov_b32 v10, v8 :: v_dual_mov_b32 v9, v7
	s_delay_alu instid0(VALU_DEP_2)
	s_and_saveexec_b32 s5, s0
; %bb.161:
	v_bfe_u32 v9, v7, 20, 1
	s_delay_alu instid0(VALU_DEP_1) | instskip(NEXT) | instid1(VALU_DEP_1)
	v_add_co_u32 v9, s0, v7, v9
	v_add_co_u32 v9, s0, v9, -1
; %bb.162:
	s_or_b32 exec_lo, exec_lo, s5
	v_add_nc_u32_e32 v10, 0xffffff81, v19
	v_lshrrev_b32_e32 v19, 23, v7
	s_delay_alu instid0(VALU_DEP_3) | instskip(SKIP_1) | instid1(VALU_DEP_3)
	v_and_b32_e32 v9, 0xfffff, v9
	s_mov_b32 s0, exec_lo
	v_cndmask_b32_e64 v10, v10, 0xffffff82, vcc_lo
	s_delay_alu instid0(VALU_DEP_2) | instskip(SKIP_1) | instid1(VALU_DEP_3)
	v_add_co_u32 v7, vcc_lo, v9, v7
	v_add_co_ci_u32_e32 v8, vcc_lo, 0, v8, vcc_lo
	v_add3_u32 v10, v30, v10, v19
                                        ; implicit-def: $vgpr9
	s_delay_alu instid0(VALU_DEP_1) | instskip(NEXT) | instid1(VALU_DEP_1)
	v_add_nc_u32_e32 v19, 6, v10
	v_cmpx_ne_u32_e32 0, v19
	s_xor_b32 s0, exec_lo, s0
; %bb.163:
	v_cmp_lt_u64_e32 vcc_lo, 0xffffff, v[7:8]
	v_add_nc_u32_e32 v9, 7, v10
	v_cndmask_b32_e64 v10, 0, 1, vcc_lo
	s_delay_alu instid0(VALU_DEP_2) | instskip(NEXT) | instid1(VALU_DEP_2)
	v_cndmask_b32_e32 v9, v19, v9, vcc_lo
	v_lshrrev_b64 v[7:8], v10, v[7:8]
; %bb.164:
	s_and_not1_saveexec_b32 s0, s0
; %bb.165:
	s_delay_alu instid0(VALU_DEP_1)
	v_bfe_u32 v9, v7, 23, 1
; %bb.166:
	s_or_b32 exec_lo, exec_lo, s0
	s_delay_alu instid0(VALU_DEP_2) | instskip(NEXT) | instid1(VALU_DEP_2)
	v_lshrrev_b64 v[7:8], 20, v[7:8]
	v_cmp_gt_i32_e32 vcc_lo, 16, v9
	v_cmp_ne_u32_e64 s0, 0, v9
                                        ; implicit-def: $vgpr19
	s_delay_alu instid0(VALU_DEP_3) | instskip(NEXT) | instid1(VALU_DEP_1)
	v_dual_cndmask_b32 v8, 0, v8 :: v_dual_cndmask_b32 v7, 7, v7
	v_cmp_ne_u64_e32 vcc_lo, 0, v[7:8]
	s_delay_alu instid0(VALU_DEP_3) | instskip(NEXT) | instid1(SALU_CYCLE_1)
	s_or_b32 s0, s0, vcc_lo
	s_and_saveexec_b32 s5, s0
	s_delay_alu instid0(SALU_CYCLE_1)
	s_xor_b32 s0, exec_lo, s5
; %bb.167:
	v_min_i32_e32 v8, 15, v9
	s_delay_alu instid0(VALU_DEP_1) | instskip(NEXT) | instid1(VALU_DEP_1)
	v_lshl_or_b32 v8, v8, 3, v20
                                        ; implicit-def: $vgpr20
	v_and_or_b32 v19, v7, 7, v8
; %bb.168:
	s_and_not1_saveexec_b32 s0, s0
; %bb.169:
	v_mov_b32_e32 v19, v20
; %bb.170:
	s_or_b32 exec_lo, exec_lo, s0
.LBB5_171:
	s_delay_alu instid0(SALU_CYCLE_1)
	s_or_b32 exec_lo, exec_lo, s4
.LBB5_172:
	s_and_not1_saveexec_b32 s0, s3
	s_delay_alu instid0(SALU_CYCLE_1)
	s_or_b32 exec_lo, exec_lo, s0
                                        ; implicit-def: $vgpr10
                                        ; implicit-def: $vgpr7_vgpr8
.LBB5_173:
	s_and_not1_saveexec_b32 s0, s2
; %bb.174:
	v_cmp_eq_u64_e32 vcc_lo, 0, v[7:8]
	v_or_b32_e32 v9, 0x7f, v10
	s_delay_alu instid0(VALU_DEP_1)
	v_cndmask_b32_e32 v19, v9, v19, vcc_lo
; %bb.175:
	s_or_b32 exec_lo, exec_lo, s0
	v_dual_mul_f32 v7, v14, v29 :: v_dual_mov_b32 v8, 0
	s_mov_b32 s0, 0xc3e00000
	s_delay_alu instid0(VALU_DEP_1) | instid1(SALU_CYCLE_1)
	v_maxmin_f32 v9, v7, s0, 0x43e00000
	s_mov_b32 s0, exec_lo
	s_delay_alu instid0(VALU_DEP_2) | instskip(NEXT) | instid1(VALU_DEP_2)
	v_mov_b32_e32 v31, v8
	v_lshrrev_b32_e32 v10, 24, v9
	v_and_b32_e32 v30, 0x7f800000, v9
	v_and_b32_e32 v7, 0x7fffff, v9
	s_delay_alu instid0(VALU_DEP_3) | instskip(NEXT) | instid1(VALU_DEP_1)
	v_and_b32_e32 v29, 0x80, v10
	v_or_b32_e32 v20, 0x7e, v29
	s_delay_alu instid0(VALU_DEP_4)
	v_cmpx_ne_u64_e32 0x7f800000, v[30:31]
	s_xor_b32 s2, exec_lo, s0
	s_cbranch_execz .LBB5_191
; %bb.176:
	v_dual_mov_b32 v31, v8 :: v_dual_and_b32 v30, 0x7fffffff, v9
	s_mov_b32 s0, exec_lo
	s_delay_alu instid0(VALU_DEP_1)
	v_cmpx_gt_u64_e32 0x43e00001, v[30:31]
	s_xor_b32 s3, exec_lo, s0
	s_cbranch_execz .LBB5_190
; %bb.177:
	v_mov_b32_e32 v20, 0
	s_mov_b32 s4, exec_lo
	v_cmpx_ne_u32_e32 0, v9
	s_cbranch_execz .LBB5_189
; %bb.178:
	v_bfe_u32 v20, v9, 23, 8
	v_or_b32_e32 v31, 0x800000, v7
	s_delay_alu instid0(VALU_DEP_2) | instskip(SKIP_1) | instid1(VALU_DEP_2)
	v_sub_nc_u32_e32 v9, 0x79, v20
	v_cmp_gt_u32_e32 vcc_lo, 0x7a, v20
	v_cndmask_b32_e32 v9, 0, v9, vcc_lo
	v_cmp_eq_u32_e32 vcc_lo, 0, v20
	s_delay_alu instid0(VALU_DEP_2) | instskip(SKIP_1) | instid1(VALU_DEP_2)
	v_cndmask_b32_e64 v30, v9, 0x78, vcc_lo
	v_cndmask_b32_e32 v7, v31, v7, vcc_lo
	v_add_nc_u32_e32 v9, 20, v30
	v_add_nc_u32_e32 v31, 19, v30
	s_delay_alu instid0(VALU_DEP_2) | instskip(NEXT) | instid1(VALU_DEP_1)
	v_lshlrev_b64 v[9:10], v9, -1
	v_not_b32_e32 v33, v9
	s_delay_alu instid0(VALU_DEP_2) | instskip(NEXT) | instid1(VALU_DEP_4)
	v_not_b32_e32 v32, v10
	v_lshlrev_b64 v[9:10], v31, 1
	s_delay_alu instid0(VALU_DEP_3) | instskip(SKIP_1) | instid1(VALU_DEP_4)
	v_and_b32_e32 v31, v7, v33
	v_lshrrev_b64 v[7:8], v30, v[7:8]
	v_and_b32_e32 v32, 0, v32
	s_delay_alu instid0(VALU_DEP_1) | instskip(NEXT) | instid1(VALU_DEP_3)
	v_cmp_eq_u64_e64 s0, v[31:32], v[9:10]
	v_dual_mov_b32 v10, v8 :: v_dual_mov_b32 v9, v7
	s_delay_alu instid0(VALU_DEP_2)
	s_and_saveexec_b32 s5, s0
; %bb.179:
	v_bfe_u32 v9, v7, 20, 1
	s_delay_alu instid0(VALU_DEP_1) | instskip(NEXT) | instid1(VALU_DEP_1)
	v_add_co_u32 v9, s0, v7, v9
	v_add_co_u32 v9, s0, v9, -1
; %bb.180:
	s_or_b32 exec_lo, exec_lo, s5
	v_add_nc_u32_e32 v10, 0xffffff81, v20
	v_lshrrev_b32_e32 v20, 23, v7
	s_delay_alu instid0(VALU_DEP_3) | instskip(SKIP_1) | instid1(VALU_DEP_3)
	v_and_b32_e32 v9, 0xfffff, v9
	s_mov_b32 s0, exec_lo
	v_cndmask_b32_e64 v10, v10, 0xffffff82, vcc_lo
	s_delay_alu instid0(VALU_DEP_2) | instskip(SKIP_1) | instid1(VALU_DEP_3)
	v_add_co_u32 v7, vcc_lo, v9, v7
	v_add_co_ci_u32_e32 v8, vcc_lo, 0, v8, vcc_lo
	v_add3_u32 v10, v30, v10, v20
                                        ; implicit-def: $vgpr9
	s_delay_alu instid0(VALU_DEP_1) | instskip(NEXT) | instid1(VALU_DEP_1)
	v_add_nc_u32_e32 v20, 6, v10
	v_cmpx_ne_u32_e32 0, v20
	s_xor_b32 s0, exec_lo, s0
; %bb.181:
	v_cmp_lt_u64_e32 vcc_lo, 0xffffff, v[7:8]
	v_add_nc_u32_e32 v9, 7, v10
	v_cndmask_b32_e64 v10, 0, 1, vcc_lo
	s_delay_alu instid0(VALU_DEP_2) | instskip(NEXT) | instid1(VALU_DEP_2)
	v_cndmask_b32_e32 v9, v20, v9, vcc_lo
	v_lshrrev_b64 v[7:8], v10, v[7:8]
; %bb.182:
	s_and_not1_saveexec_b32 s0, s0
; %bb.183:
	s_delay_alu instid0(VALU_DEP_1)
	v_bfe_u32 v9, v7, 23, 1
; %bb.184:
	s_or_b32 exec_lo, exec_lo, s0
	s_delay_alu instid0(VALU_DEP_2) | instskip(NEXT) | instid1(VALU_DEP_2)
	v_lshrrev_b64 v[7:8], 20, v[7:8]
	v_cmp_gt_i32_e32 vcc_lo, 16, v9
	v_cmp_ne_u32_e64 s0, 0, v9
                                        ; implicit-def: $vgpr20
	s_delay_alu instid0(VALU_DEP_3) | instskip(NEXT) | instid1(VALU_DEP_1)
	v_dual_cndmask_b32 v8, 0, v8 :: v_dual_cndmask_b32 v7, 7, v7
	v_cmp_ne_u64_e32 vcc_lo, 0, v[7:8]
	s_delay_alu instid0(VALU_DEP_3) | instskip(NEXT) | instid1(SALU_CYCLE_1)
	s_or_b32 s0, s0, vcc_lo
	s_and_saveexec_b32 s5, s0
	s_delay_alu instid0(SALU_CYCLE_1)
	s_xor_b32 s0, exec_lo, s5
; %bb.185:
	v_min_i32_e32 v8, 15, v9
	s_delay_alu instid0(VALU_DEP_1) | instskip(NEXT) | instid1(VALU_DEP_1)
	v_lshl_or_b32 v8, v8, 3, v29
                                        ; implicit-def: $vgpr29
	v_and_or_b32 v20, v7, 7, v8
; %bb.186:
	s_and_not1_saveexec_b32 s0, s0
; %bb.187:
	v_mov_b32_e32 v20, v29
; %bb.188:
	s_or_b32 exec_lo, exec_lo, s0
.LBB5_189:
	s_delay_alu instid0(SALU_CYCLE_1)
	s_or_b32 exec_lo, exec_lo, s4
.LBB5_190:
	s_and_not1_saveexec_b32 s0, s3
	s_delay_alu instid0(SALU_CYCLE_1)
	s_or_b32 exec_lo, exec_lo, s0
                                        ; implicit-def: $vgpr10
                                        ; implicit-def: $vgpr7_vgpr8
.LBB5_191:
	s_and_not1_saveexec_b32 s0, s2
; %bb.192:
	v_cmp_eq_u64_e32 vcc_lo, 0, v[7:8]
	v_or_b32_e32 v9, 0x7f, v10
	s_delay_alu instid0(VALU_DEP_1)
	v_cndmask_b32_e32 v20, v9, v20, vcc_lo
; %bb.193:
	s_or_b32 exec_lo, exec_lo, s0
	v_dual_mul_f32 v7, v14, v26 :: v_dual_mov_b32 v8, 0
	s_mov_b32 s0, 0xc3e00000
	s_delay_alu instid0(VALU_DEP_1) | instid1(SALU_CYCLE_1)
	v_maxmin_f32 v9, v7, s0, 0x43e00000
	s_mov_b32 s0, exec_lo
	s_delay_alu instid0(VALU_DEP_2) | instskip(NEXT) | instid1(VALU_DEP_2)
	v_mov_b32_e32 v31, v8
	v_lshrrev_b32_e32 v10, 24, v9
	v_and_b32_e32 v30, 0x7f800000, v9
	v_and_b32_e32 v7, 0x7fffff, v9
	s_delay_alu instid0(VALU_DEP_3) | instskip(NEXT) | instid1(VALU_DEP_1)
	v_and_b32_e32 v29, 0x80, v10
	v_or_b32_e32 v26, 0x7e, v29
	s_delay_alu instid0(VALU_DEP_4)
	v_cmpx_ne_u64_e32 0x7f800000, v[30:31]
	s_xor_b32 s2, exec_lo, s0
	s_cbranch_execz .LBB5_209
; %bb.194:
	v_dual_mov_b32 v31, v8 :: v_dual_and_b32 v30, 0x7fffffff, v9
	s_mov_b32 s0, exec_lo
	s_delay_alu instid0(VALU_DEP_1)
	v_cmpx_gt_u64_e32 0x43e00001, v[30:31]
	s_xor_b32 s3, exec_lo, s0
	s_cbranch_execz .LBB5_208
; %bb.195:
	v_mov_b32_e32 v26, 0
	s_mov_b32 s4, exec_lo
	v_cmpx_ne_u32_e32 0, v9
	s_cbranch_execz .LBB5_207
; %bb.196:
	v_bfe_u32 v26, v9, 23, 8
	v_or_b32_e32 v31, 0x800000, v7
	s_delay_alu instid0(VALU_DEP_2) | instskip(SKIP_1) | instid1(VALU_DEP_2)
	v_sub_nc_u32_e32 v9, 0x79, v26
	v_cmp_gt_u32_e32 vcc_lo, 0x7a, v26
	v_cndmask_b32_e32 v9, 0, v9, vcc_lo
	v_cmp_eq_u32_e32 vcc_lo, 0, v26
	s_delay_alu instid0(VALU_DEP_2) | instskip(SKIP_1) | instid1(VALU_DEP_2)
	v_cndmask_b32_e64 v30, v9, 0x78, vcc_lo
	v_cndmask_b32_e32 v7, v31, v7, vcc_lo
	v_add_nc_u32_e32 v9, 20, v30
	v_add_nc_u32_e32 v31, 19, v30
	s_delay_alu instid0(VALU_DEP_2) | instskip(NEXT) | instid1(VALU_DEP_1)
	v_lshlrev_b64 v[9:10], v9, -1
	v_not_b32_e32 v33, v9
	s_delay_alu instid0(VALU_DEP_2) | instskip(NEXT) | instid1(VALU_DEP_4)
	v_not_b32_e32 v32, v10
	v_lshlrev_b64 v[9:10], v31, 1
	s_delay_alu instid0(VALU_DEP_3) | instskip(SKIP_1) | instid1(VALU_DEP_4)
	v_and_b32_e32 v31, v7, v33
	v_lshrrev_b64 v[7:8], v30, v[7:8]
	v_and_b32_e32 v32, 0, v32
	s_delay_alu instid0(VALU_DEP_1) | instskip(NEXT) | instid1(VALU_DEP_3)
	v_cmp_eq_u64_e64 s0, v[31:32], v[9:10]
	v_dual_mov_b32 v10, v8 :: v_dual_mov_b32 v9, v7
	s_delay_alu instid0(VALU_DEP_2)
	s_and_saveexec_b32 s5, s0
; %bb.197:
	v_bfe_u32 v9, v7, 20, 1
	s_delay_alu instid0(VALU_DEP_1) | instskip(NEXT) | instid1(VALU_DEP_1)
	v_add_co_u32 v9, s0, v7, v9
	v_add_co_u32 v9, s0, v9, -1
; %bb.198:
	s_or_b32 exec_lo, exec_lo, s5
	v_add_nc_u32_e32 v10, 0xffffff81, v26
	v_lshrrev_b32_e32 v26, 23, v7
	s_delay_alu instid0(VALU_DEP_3) | instskip(SKIP_1) | instid1(VALU_DEP_3)
	v_and_b32_e32 v9, 0xfffff, v9
	s_mov_b32 s0, exec_lo
	v_cndmask_b32_e64 v10, v10, 0xffffff82, vcc_lo
	s_delay_alu instid0(VALU_DEP_2) | instskip(SKIP_1) | instid1(VALU_DEP_3)
	v_add_co_u32 v7, vcc_lo, v9, v7
	v_add_co_ci_u32_e32 v8, vcc_lo, 0, v8, vcc_lo
	v_add3_u32 v10, v30, v10, v26
                                        ; implicit-def: $vgpr9
	s_delay_alu instid0(VALU_DEP_1) | instskip(NEXT) | instid1(VALU_DEP_1)
	v_add_nc_u32_e32 v26, 6, v10
	v_cmpx_ne_u32_e32 0, v26
	s_xor_b32 s0, exec_lo, s0
; %bb.199:
	v_cmp_lt_u64_e32 vcc_lo, 0xffffff, v[7:8]
	v_add_nc_u32_e32 v9, 7, v10
	v_cndmask_b32_e64 v10, 0, 1, vcc_lo
	s_delay_alu instid0(VALU_DEP_2) | instskip(NEXT) | instid1(VALU_DEP_2)
	v_cndmask_b32_e32 v9, v26, v9, vcc_lo
	v_lshrrev_b64 v[7:8], v10, v[7:8]
; %bb.200:
	s_and_not1_saveexec_b32 s0, s0
; %bb.201:
	s_delay_alu instid0(VALU_DEP_1)
	v_bfe_u32 v9, v7, 23, 1
; %bb.202:
	s_or_b32 exec_lo, exec_lo, s0
	s_delay_alu instid0(VALU_DEP_2) | instskip(NEXT) | instid1(VALU_DEP_2)
	v_lshrrev_b64 v[7:8], 20, v[7:8]
	v_cmp_gt_i32_e32 vcc_lo, 16, v9
	v_cmp_ne_u32_e64 s0, 0, v9
                                        ; implicit-def: $vgpr26
	s_delay_alu instid0(VALU_DEP_3) | instskip(NEXT) | instid1(VALU_DEP_1)
	v_dual_cndmask_b32 v8, 0, v8 :: v_dual_cndmask_b32 v7, 7, v7
	v_cmp_ne_u64_e32 vcc_lo, 0, v[7:8]
	s_delay_alu instid0(VALU_DEP_3) | instskip(NEXT) | instid1(SALU_CYCLE_1)
	s_or_b32 s0, s0, vcc_lo
	s_and_saveexec_b32 s5, s0
	s_delay_alu instid0(SALU_CYCLE_1)
	s_xor_b32 s0, exec_lo, s5
; %bb.203:
	v_min_i32_e32 v8, 15, v9
	s_delay_alu instid0(VALU_DEP_1) | instskip(NEXT) | instid1(VALU_DEP_1)
	v_lshl_or_b32 v8, v8, 3, v29
                                        ; implicit-def: $vgpr29
	v_and_or_b32 v26, v7, 7, v8
; %bb.204:
	s_and_not1_saveexec_b32 s0, s0
; %bb.205:
	v_mov_b32_e32 v26, v29
; %bb.206:
	s_or_b32 exec_lo, exec_lo, s0
.LBB5_207:
	s_delay_alu instid0(SALU_CYCLE_1)
	s_or_b32 exec_lo, exec_lo, s4
.LBB5_208:
	s_and_not1_saveexec_b32 s0, s3
	s_delay_alu instid0(SALU_CYCLE_1)
	s_or_b32 exec_lo, exec_lo, s0
                                        ; implicit-def: $vgpr10
                                        ; implicit-def: $vgpr7_vgpr8
.LBB5_209:
	s_and_not1_saveexec_b32 s0, s2
; %bb.210:
	v_cmp_eq_u64_e32 vcc_lo, 0, v[7:8]
	v_or_b32_e32 v9, 0x7f, v10
	s_delay_alu instid0(VALU_DEP_1)
	v_cndmask_b32_e32 v26, v9, v26, vcc_lo
; %bb.211:
	s_or_b32 exec_lo, exec_lo, s0
	v_dual_mul_f32 v7, v14, v28 :: v_dual_mov_b32 v8, 0
	s_mov_b32 s0, 0xc3e00000
	s_delay_alu instid0(VALU_DEP_1) | instid1(SALU_CYCLE_1)
	v_maxmin_f32 v9, v7, s0, 0x43e00000
	s_mov_b32 s0, exec_lo
	s_delay_alu instid0(VALU_DEP_2) | instskip(NEXT) | instid1(VALU_DEP_2)
	v_mov_b32_e32 v31, v8
	v_lshrrev_b32_e32 v10, 24, v9
	v_and_b32_e32 v30, 0x7f800000, v9
	v_and_b32_e32 v7, 0x7fffff, v9
	s_delay_alu instid0(VALU_DEP_3) | instskip(NEXT) | instid1(VALU_DEP_1)
	v_and_b32_e32 v29, 0x80, v10
	v_or_b32_e32 v28, 0x7e, v29
	s_delay_alu instid0(VALU_DEP_4)
	v_cmpx_ne_u64_e32 0x7f800000, v[30:31]
	s_xor_b32 s2, exec_lo, s0
	s_cbranch_execz .LBB5_227
; %bb.212:
	v_dual_mov_b32 v31, v8 :: v_dual_and_b32 v30, 0x7fffffff, v9
	s_mov_b32 s0, exec_lo
	s_delay_alu instid0(VALU_DEP_1)
	v_cmpx_gt_u64_e32 0x43e00001, v[30:31]
	s_xor_b32 s3, exec_lo, s0
	s_cbranch_execz .LBB5_226
; %bb.213:
	v_mov_b32_e32 v28, 0
	s_mov_b32 s4, exec_lo
	v_cmpx_ne_u32_e32 0, v9
	s_cbranch_execz .LBB5_225
; %bb.214:
	v_bfe_u32 v28, v9, 23, 8
	v_or_b32_e32 v31, 0x800000, v7
	s_delay_alu instid0(VALU_DEP_2) | instskip(SKIP_1) | instid1(VALU_DEP_2)
	v_sub_nc_u32_e32 v9, 0x79, v28
	v_cmp_gt_u32_e32 vcc_lo, 0x7a, v28
	v_cndmask_b32_e32 v9, 0, v9, vcc_lo
	v_cmp_eq_u32_e32 vcc_lo, 0, v28
	s_delay_alu instid0(VALU_DEP_2) | instskip(SKIP_1) | instid1(VALU_DEP_2)
	v_cndmask_b32_e64 v30, v9, 0x78, vcc_lo
	v_cndmask_b32_e32 v7, v31, v7, vcc_lo
	v_add_nc_u32_e32 v9, 20, v30
	v_add_nc_u32_e32 v31, 19, v30
	s_delay_alu instid0(VALU_DEP_2) | instskip(NEXT) | instid1(VALU_DEP_1)
	v_lshlrev_b64 v[9:10], v9, -1
	v_not_b32_e32 v33, v9
	s_delay_alu instid0(VALU_DEP_2) | instskip(NEXT) | instid1(VALU_DEP_4)
	v_not_b32_e32 v32, v10
	v_lshlrev_b64 v[9:10], v31, 1
	s_delay_alu instid0(VALU_DEP_3) | instskip(SKIP_1) | instid1(VALU_DEP_4)
	v_and_b32_e32 v31, v7, v33
	v_lshrrev_b64 v[7:8], v30, v[7:8]
	v_and_b32_e32 v32, 0, v32
	s_delay_alu instid0(VALU_DEP_1) | instskip(NEXT) | instid1(VALU_DEP_3)
	v_cmp_eq_u64_e64 s0, v[31:32], v[9:10]
	v_dual_mov_b32 v10, v8 :: v_dual_mov_b32 v9, v7
	s_delay_alu instid0(VALU_DEP_2)
	s_and_saveexec_b32 s5, s0
; %bb.215:
	v_bfe_u32 v9, v7, 20, 1
	s_delay_alu instid0(VALU_DEP_1) | instskip(NEXT) | instid1(VALU_DEP_1)
	v_add_co_u32 v9, s0, v7, v9
	v_add_co_u32 v9, s0, v9, -1
; %bb.216:
	s_or_b32 exec_lo, exec_lo, s5
	v_add_nc_u32_e32 v10, 0xffffff81, v28
	v_lshrrev_b32_e32 v28, 23, v7
	s_delay_alu instid0(VALU_DEP_3) | instskip(SKIP_1) | instid1(VALU_DEP_3)
	v_and_b32_e32 v9, 0xfffff, v9
	s_mov_b32 s0, exec_lo
	v_cndmask_b32_e64 v10, v10, 0xffffff82, vcc_lo
	s_delay_alu instid0(VALU_DEP_2) | instskip(SKIP_1) | instid1(VALU_DEP_3)
	v_add_co_u32 v7, vcc_lo, v9, v7
	v_add_co_ci_u32_e32 v8, vcc_lo, 0, v8, vcc_lo
	v_add3_u32 v10, v30, v10, v28
                                        ; implicit-def: $vgpr9
	s_delay_alu instid0(VALU_DEP_1) | instskip(NEXT) | instid1(VALU_DEP_1)
	v_add_nc_u32_e32 v28, 6, v10
	v_cmpx_ne_u32_e32 0, v28
	s_xor_b32 s0, exec_lo, s0
; %bb.217:
	v_cmp_lt_u64_e32 vcc_lo, 0xffffff, v[7:8]
	v_add_nc_u32_e32 v9, 7, v10
	v_cndmask_b32_e64 v10, 0, 1, vcc_lo
	s_delay_alu instid0(VALU_DEP_2) | instskip(NEXT) | instid1(VALU_DEP_2)
	v_cndmask_b32_e32 v9, v28, v9, vcc_lo
	v_lshrrev_b64 v[7:8], v10, v[7:8]
; %bb.218:
	s_and_not1_saveexec_b32 s0, s0
; %bb.219:
	s_delay_alu instid0(VALU_DEP_1)
	v_bfe_u32 v9, v7, 23, 1
; %bb.220:
	s_or_b32 exec_lo, exec_lo, s0
	s_delay_alu instid0(VALU_DEP_2) | instskip(NEXT) | instid1(VALU_DEP_2)
	v_lshrrev_b64 v[7:8], 20, v[7:8]
	v_cmp_gt_i32_e32 vcc_lo, 16, v9
	v_cmp_ne_u32_e64 s0, 0, v9
                                        ; implicit-def: $vgpr28
	s_delay_alu instid0(VALU_DEP_3) | instskip(NEXT) | instid1(VALU_DEP_1)
	v_dual_cndmask_b32 v8, 0, v8 :: v_dual_cndmask_b32 v7, 7, v7
	v_cmp_ne_u64_e32 vcc_lo, 0, v[7:8]
	s_delay_alu instid0(VALU_DEP_3) | instskip(NEXT) | instid1(SALU_CYCLE_1)
	s_or_b32 s0, s0, vcc_lo
	s_and_saveexec_b32 s5, s0
	s_delay_alu instid0(SALU_CYCLE_1)
	s_xor_b32 s0, exec_lo, s5
; %bb.221:
	v_min_i32_e32 v8, 15, v9
	s_delay_alu instid0(VALU_DEP_1) | instskip(NEXT) | instid1(VALU_DEP_1)
	v_lshl_or_b32 v8, v8, 3, v29
                                        ; implicit-def: $vgpr29
	v_and_or_b32 v28, v7, 7, v8
; %bb.222:
	s_and_not1_saveexec_b32 s0, s0
; %bb.223:
	v_mov_b32_e32 v28, v29
; %bb.224:
	s_or_b32 exec_lo, exec_lo, s0
.LBB5_225:
	s_delay_alu instid0(SALU_CYCLE_1)
	s_or_b32 exec_lo, exec_lo, s4
.LBB5_226:
	s_and_not1_saveexec_b32 s0, s3
	s_delay_alu instid0(SALU_CYCLE_1)
	s_or_b32 exec_lo, exec_lo, s0
                                        ; implicit-def: $vgpr10
                                        ; implicit-def: $vgpr7_vgpr8
.LBB5_227:
	s_and_not1_saveexec_b32 s0, s2
; %bb.228:
	v_cmp_eq_u64_e32 vcc_lo, 0, v[7:8]
	v_or_b32_e32 v9, 0x7f, v10
	s_delay_alu instid0(VALU_DEP_1)
	v_cndmask_b32_e32 v28, v9, v28, vcc_lo
; %bb.229:
	s_or_b32 exec_lo, exec_lo, s0
	v_dual_mul_f32 v7, v14, v27 :: v_dual_mov_b32 v8, 0
	s_mov_b32 s0, 0xc3e00000
	s_delay_alu instid0(VALU_DEP_1) | instid1(SALU_CYCLE_1)
	v_maxmin_f32 v9, v7, s0, 0x43e00000
	s_mov_b32 s0, exec_lo
	s_delay_alu instid0(VALU_DEP_2) | instskip(NEXT) | instid1(VALU_DEP_2)
	v_mov_b32_e32 v31, v8
	v_lshrrev_b32_e32 v10, 24, v9
	v_and_b32_e32 v30, 0x7f800000, v9
	v_and_b32_e32 v7, 0x7fffff, v9
	s_delay_alu instid0(VALU_DEP_3) | instskip(NEXT) | instid1(VALU_DEP_1)
	v_and_b32_e32 v29, 0x80, v10
	v_or_b32_e32 v27, 0x7e, v29
	s_delay_alu instid0(VALU_DEP_4)
	v_cmpx_ne_u64_e32 0x7f800000, v[30:31]
	s_xor_b32 s2, exec_lo, s0
	s_cbranch_execz .LBB5_245
; %bb.230:
	v_dual_mov_b32 v31, v8 :: v_dual_and_b32 v30, 0x7fffffff, v9
	s_mov_b32 s0, exec_lo
	s_delay_alu instid0(VALU_DEP_1)
	v_cmpx_gt_u64_e32 0x43e00001, v[30:31]
	s_xor_b32 s3, exec_lo, s0
	s_cbranch_execz .LBB5_244
; %bb.231:
	v_mov_b32_e32 v27, 0
	s_mov_b32 s4, exec_lo
	v_cmpx_ne_u32_e32 0, v9
	s_cbranch_execz .LBB5_243
; %bb.232:
	v_bfe_u32 v27, v9, 23, 8
	v_or_b32_e32 v31, 0x800000, v7
	s_delay_alu instid0(VALU_DEP_2) | instskip(SKIP_1) | instid1(VALU_DEP_2)
	v_sub_nc_u32_e32 v9, 0x79, v27
	v_cmp_gt_u32_e32 vcc_lo, 0x7a, v27
	v_cndmask_b32_e32 v9, 0, v9, vcc_lo
	v_cmp_eq_u32_e32 vcc_lo, 0, v27
	s_delay_alu instid0(VALU_DEP_2) | instskip(SKIP_1) | instid1(VALU_DEP_2)
	v_cndmask_b32_e64 v30, v9, 0x78, vcc_lo
	v_cndmask_b32_e32 v7, v31, v7, vcc_lo
	v_add_nc_u32_e32 v9, 20, v30
	v_add_nc_u32_e32 v31, 19, v30
	s_delay_alu instid0(VALU_DEP_2) | instskip(NEXT) | instid1(VALU_DEP_1)
	v_lshlrev_b64 v[9:10], v9, -1
	v_not_b32_e32 v33, v9
	s_delay_alu instid0(VALU_DEP_2) | instskip(NEXT) | instid1(VALU_DEP_4)
	v_not_b32_e32 v32, v10
	v_lshlrev_b64 v[9:10], v31, 1
	s_delay_alu instid0(VALU_DEP_3) | instskip(SKIP_1) | instid1(VALU_DEP_4)
	v_and_b32_e32 v31, v7, v33
	v_lshrrev_b64 v[7:8], v30, v[7:8]
	v_and_b32_e32 v32, 0, v32
	s_delay_alu instid0(VALU_DEP_1) | instskip(NEXT) | instid1(VALU_DEP_3)
	v_cmp_eq_u64_e64 s0, v[31:32], v[9:10]
	v_dual_mov_b32 v10, v8 :: v_dual_mov_b32 v9, v7
	s_delay_alu instid0(VALU_DEP_2)
	s_and_saveexec_b32 s5, s0
; %bb.233:
	v_bfe_u32 v9, v7, 20, 1
	s_delay_alu instid0(VALU_DEP_1) | instskip(NEXT) | instid1(VALU_DEP_1)
	v_add_co_u32 v9, s0, v7, v9
	v_add_co_u32 v9, s0, v9, -1
; %bb.234:
	s_or_b32 exec_lo, exec_lo, s5
	v_add_nc_u32_e32 v10, 0xffffff81, v27
	v_lshrrev_b32_e32 v27, 23, v7
	s_delay_alu instid0(VALU_DEP_3) | instskip(SKIP_1) | instid1(VALU_DEP_3)
	v_and_b32_e32 v9, 0xfffff, v9
	s_mov_b32 s0, exec_lo
	v_cndmask_b32_e64 v10, v10, 0xffffff82, vcc_lo
	s_delay_alu instid0(VALU_DEP_2) | instskip(SKIP_1) | instid1(VALU_DEP_3)
	v_add_co_u32 v7, vcc_lo, v9, v7
	v_add_co_ci_u32_e32 v8, vcc_lo, 0, v8, vcc_lo
	v_add3_u32 v10, v30, v10, v27
                                        ; implicit-def: $vgpr9
	s_delay_alu instid0(VALU_DEP_1) | instskip(NEXT) | instid1(VALU_DEP_1)
	v_add_nc_u32_e32 v27, 6, v10
	v_cmpx_ne_u32_e32 0, v27
	s_xor_b32 s0, exec_lo, s0
; %bb.235:
	v_cmp_lt_u64_e32 vcc_lo, 0xffffff, v[7:8]
	v_add_nc_u32_e32 v9, 7, v10
	v_cndmask_b32_e64 v10, 0, 1, vcc_lo
	s_delay_alu instid0(VALU_DEP_2) | instskip(NEXT) | instid1(VALU_DEP_2)
	v_cndmask_b32_e32 v9, v27, v9, vcc_lo
	v_lshrrev_b64 v[7:8], v10, v[7:8]
; %bb.236:
	s_and_not1_saveexec_b32 s0, s0
; %bb.237:
	s_delay_alu instid0(VALU_DEP_1)
	v_bfe_u32 v9, v7, 23, 1
; %bb.238:
	s_or_b32 exec_lo, exec_lo, s0
	s_delay_alu instid0(VALU_DEP_2) | instskip(NEXT) | instid1(VALU_DEP_2)
	v_lshrrev_b64 v[7:8], 20, v[7:8]
	v_cmp_gt_i32_e32 vcc_lo, 16, v9
	v_cmp_ne_u32_e64 s0, 0, v9
                                        ; implicit-def: $vgpr27
	s_delay_alu instid0(VALU_DEP_3) | instskip(NEXT) | instid1(VALU_DEP_1)
	v_dual_cndmask_b32 v8, 0, v8 :: v_dual_cndmask_b32 v7, 7, v7
	v_cmp_ne_u64_e32 vcc_lo, 0, v[7:8]
	s_delay_alu instid0(VALU_DEP_3) | instskip(NEXT) | instid1(SALU_CYCLE_1)
	s_or_b32 s0, s0, vcc_lo
	s_and_saveexec_b32 s5, s0
	s_delay_alu instid0(SALU_CYCLE_1)
	s_xor_b32 s0, exec_lo, s5
; %bb.239:
	v_min_i32_e32 v8, 15, v9
	s_delay_alu instid0(VALU_DEP_1) | instskip(NEXT) | instid1(VALU_DEP_1)
	v_lshl_or_b32 v8, v8, 3, v29
                                        ; implicit-def: $vgpr29
	v_and_or_b32 v27, v7, 7, v8
; %bb.240:
	s_and_not1_saveexec_b32 s0, s0
; %bb.241:
	v_mov_b32_e32 v27, v29
; %bb.242:
	s_or_b32 exec_lo, exec_lo, s0
.LBB5_243:
	s_delay_alu instid0(SALU_CYCLE_1)
	s_or_b32 exec_lo, exec_lo, s4
.LBB5_244:
	s_and_not1_saveexec_b32 s0, s3
	s_delay_alu instid0(SALU_CYCLE_1)
	s_or_b32 exec_lo, exec_lo, s0
                                        ; implicit-def: $vgpr10
                                        ; implicit-def: $vgpr7_vgpr8
.LBB5_245:
	s_and_not1_saveexec_b32 s0, s2
; %bb.246:
	v_cmp_eq_u64_e32 vcc_lo, 0, v[7:8]
	v_or_b32_e32 v9, 0x7f, v10
	s_delay_alu instid0(VALU_DEP_1)
	v_cndmask_b32_e32 v27, v9, v27, vcc_lo
; %bb.247:
	s_or_b32 exec_lo, exec_lo, s0
	v_dual_mul_f32 v7, v14, v25 :: v_dual_mov_b32 v8, 0
	s_mov_b32 s0, 0xc3e00000
	s_delay_alu instid0(VALU_DEP_1) | instid1(SALU_CYCLE_1)
	v_maxmin_f32 v9, v7, s0, 0x43e00000
	s_mov_b32 s0, exec_lo
	s_delay_alu instid0(VALU_DEP_2) | instskip(NEXT) | instid1(VALU_DEP_2)
	v_mov_b32_e32 v31, v8
	v_lshrrev_b32_e32 v10, 24, v9
	v_and_b32_e32 v30, 0x7f800000, v9
	v_and_b32_e32 v7, 0x7fffff, v9
	s_delay_alu instid0(VALU_DEP_3) | instskip(NEXT) | instid1(VALU_DEP_1)
	v_and_b32_e32 v29, 0x80, v10
	v_or_b32_e32 v25, 0x7e, v29
	s_delay_alu instid0(VALU_DEP_4)
	v_cmpx_ne_u64_e32 0x7f800000, v[30:31]
	s_xor_b32 s2, exec_lo, s0
	s_cbranch_execz .LBB5_263
; %bb.248:
	v_dual_mov_b32 v31, v8 :: v_dual_and_b32 v30, 0x7fffffff, v9
	s_mov_b32 s0, exec_lo
	s_delay_alu instid0(VALU_DEP_1)
	v_cmpx_gt_u64_e32 0x43e00001, v[30:31]
	s_xor_b32 s3, exec_lo, s0
	s_cbranch_execz .LBB5_262
; %bb.249:
	v_mov_b32_e32 v25, 0
	s_mov_b32 s4, exec_lo
	v_cmpx_ne_u32_e32 0, v9
	s_cbranch_execz .LBB5_261
; %bb.250:
	v_bfe_u32 v25, v9, 23, 8
	v_or_b32_e32 v31, 0x800000, v7
	s_delay_alu instid0(VALU_DEP_2) | instskip(SKIP_1) | instid1(VALU_DEP_2)
	v_sub_nc_u32_e32 v9, 0x79, v25
	v_cmp_gt_u32_e32 vcc_lo, 0x7a, v25
	v_cndmask_b32_e32 v9, 0, v9, vcc_lo
	v_cmp_eq_u32_e32 vcc_lo, 0, v25
	s_delay_alu instid0(VALU_DEP_2) | instskip(SKIP_1) | instid1(VALU_DEP_2)
	v_cndmask_b32_e64 v30, v9, 0x78, vcc_lo
	v_cndmask_b32_e32 v7, v31, v7, vcc_lo
	v_add_nc_u32_e32 v9, 20, v30
	v_add_nc_u32_e32 v31, 19, v30
	s_delay_alu instid0(VALU_DEP_2) | instskip(NEXT) | instid1(VALU_DEP_1)
	v_lshlrev_b64 v[9:10], v9, -1
	v_not_b32_e32 v33, v9
	s_delay_alu instid0(VALU_DEP_2) | instskip(NEXT) | instid1(VALU_DEP_4)
	v_not_b32_e32 v32, v10
	v_lshlrev_b64 v[9:10], v31, 1
	s_delay_alu instid0(VALU_DEP_3) | instskip(SKIP_1) | instid1(VALU_DEP_4)
	v_and_b32_e32 v31, v7, v33
	v_lshrrev_b64 v[7:8], v30, v[7:8]
	v_and_b32_e32 v32, 0, v32
	s_delay_alu instid0(VALU_DEP_1) | instskip(NEXT) | instid1(VALU_DEP_3)
	v_cmp_eq_u64_e64 s0, v[31:32], v[9:10]
	v_dual_mov_b32 v10, v8 :: v_dual_mov_b32 v9, v7
	s_delay_alu instid0(VALU_DEP_2)
	s_and_saveexec_b32 s5, s0
; %bb.251:
	v_bfe_u32 v9, v7, 20, 1
	s_delay_alu instid0(VALU_DEP_1) | instskip(NEXT) | instid1(VALU_DEP_1)
	v_add_co_u32 v9, s0, v7, v9
	v_add_co_u32 v9, s0, v9, -1
; %bb.252:
	s_or_b32 exec_lo, exec_lo, s5
	v_add_nc_u32_e32 v10, 0xffffff81, v25
	v_lshrrev_b32_e32 v25, 23, v7
	s_delay_alu instid0(VALU_DEP_3) | instskip(SKIP_1) | instid1(VALU_DEP_3)
	v_and_b32_e32 v9, 0xfffff, v9
	s_mov_b32 s0, exec_lo
	v_cndmask_b32_e64 v10, v10, 0xffffff82, vcc_lo
	s_delay_alu instid0(VALU_DEP_2) | instskip(SKIP_1) | instid1(VALU_DEP_3)
	v_add_co_u32 v7, vcc_lo, v9, v7
	v_add_co_ci_u32_e32 v8, vcc_lo, 0, v8, vcc_lo
	v_add3_u32 v10, v30, v10, v25
                                        ; implicit-def: $vgpr9
	s_delay_alu instid0(VALU_DEP_1) | instskip(NEXT) | instid1(VALU_DEP_1)
	v_add_nc_u32_e32 v25, 6, v10
	v_cmpx_ne_u32_e32 0, v25
	s_xor_b32 s0, exec_lo, s0
; %bb.253:
	v_cmp_lt_u64_e32 vcc_lo, 0xffffff, v[7:8]
	v_add_nc_u32_e32 v9, 7, v10
	v_cndmask_b32_e64 v10, 0, 1, vcc_lo
	s_delay_alu instid0(VALU_DEP_2) | instskip(NEXT) | instid1(VALU_DEP_2)
	v_cndmask_b32_e32 v9, v25, v9, vcc_lo
	v_lshrrev_b64 v[7:8], v10, v[7:8]
; %bb.254:
	s_and_not1_saveexec_b32 s0, s0
; %bb.255:
	s_delay_alu instid0(VALU_DEP_1)
	v_bfe_u32 v9, v7, 23, 1
; %bb.256:
	s_or_b32 exec_lo, exec_lo, s0
	s_delay_alu instid0(VALU_DEP_2) | instskip(NEXT) | instid1(VALU_DEP_2)
	v_lshrrev_b64 v[7:8], 20, v[7:8]
	v_cmp_gt_i32_e32 vcc_lo, 16, v9
	v_cmp_ne_u32_e64 s0, 0, v9
                                        ; implicit-def: $vgpr25
	s_delay_alu instid0(VALU_DEP_3) | instskip(NEXT) | instid1(VALU_DEP_1)
	v_dual_cndmask_b32 v8, 0, v8 :: v_dual_cndmask_b32 v7, 7, v7
	v_cmp_ne_u64_e32 vcc_lo, 0, v[7:8]
	s_delay_alu instid0(VALU_DEP_3) | instskip(NEXT) | instid1(SALU_CYCLE_1)
	s_or_b32 s0, s0, vcc_lo
	s_and_saveexec_b32 s5, s0
	s_delay_alu instid0(SALU_CYCLE_1)
	s_xor_b32 s0, exec_lo, s5
; %bb.257:
	v_min_i32_e32 v8, 15, v9
	s_delay_alu instid0(VALU_DEP_1) | instskip(NEXT) | instid1(VALU_DEP_1)
	v_lshl_or_b32 v8, v8, 3, v29
                                        ; implicit-def: $vgpr29
	v_and_or_b32 v25, v7, 7, v8
; %bb.258:
	s_and_not1_saveexec_b32 s0, s0
; %bb.259:
	v_mov_b32_e32 v25, v29
; %bb.260:
	s_or_b32 exec_lo, exec_lo, s0
.LBB5_261:
	s_delay_alu instid0(SALU_CYCLE_1)
	s_or_b32 exec_lo, exec_lo, s4
.LBB5_262:
	s_and_not1_saveexec_b32 s0, s3
	s_delay_alu instid0(SALU_CYCLE_1)
	s_or_b32 exec_lo, exec_lo, s0
                                        ; implicit-def: $vgpr10
                                        ; implicit-def: $vgpr7_vgpr8
.LBB5_263:
	s_and_not1_saveexec_b32 s0, s2
; %bb.264:
	v_cmp_eq_u64_e32 vcc_lo, 0, v[7:8]
	v_or_b32_e32 v9, 0x7f, v10
	s_delay_alu instid0(VALU_DEP_1)
	v_cndmask_b32_e32 v25, v9, v25, vcc_lo
; %bb.265:
	s_or_b32 exec_lo, exec_lo, s0
	v_dual_mul_f32 v7, v14, v24 :: v_dual_mov_b32 v8, 0
	s_mov_b32 s0, 0xc3e00000
	s_delay_alu instid0(VALU_DEP_1) | instid1(SALU_CYCLE_1)
	v_maxmin_f32 v9, v7, s0, 0x43e00000
	s_mov_b32 s0, exec_lo
	s_delay_alu instid0(VALU_DEP_2) | instskip(NEXT) | instid1(VALU_DEP_2)
	v_mov_b32_e32 v31, v8
	v_lshrrev_b32_e32 v10, 24, v9
	v_and_b32_e32 v30, 0x7f800000, v9
	v_and_b32_e32 v7, 0x7fffff, v9
	s_delay_alu instid0(VALU_DEP_3) | instskip(NEXT) | instid1(VALU_DEP_1)
	v_and_b32_e32 v29, 0x80, v10
	v_or_b32_e32 v24, 0x7e, v29
	s_delay_alu instid0(VALU_DEP_4)
	v_cmpx_ne_u64_e32 0x7f800000, v[30:31]
	s_xor_b32 s2, exec_lo, s0
	s_cbranch_execz .LBB5_281
; %bb.266:
	v_dual_mov_b32 v31, v8 :: v_dual_and_b32 v30, 0x7fffffff, v9
	s_mov_b32 s0, exec_lo
	s_delay_alu instid0(VALU_DEP_1)
	v_cmpx_gt_u64_e32 0x43e00001, v[30:31]
	s_xor_b32 s3, exec_lo, s0
	s_cbranch_execz .LBB5_280
; %bb.267:
	v_mov_b32_e32 v24, 0
	s_mov_b32 s4, exec_lo
	v_cmpx_ne_u32_e32 0, v9
	s_cbranch_execz .LBB5_279
; %bb.268:
	v_bfe_u32 v24, v9, 23, 8
	v_or_b32_e32 v31, 0x800000, v7
	s_delay_alu instid0(VALU_DEP_2) | instskip(SKIP_1) | instid1(VALU_DEP_2)
	v_sub_nc_u32_e32 v9, 0x79, v24
	v_cmp_gt_u32_e32 vcc_lo, 0x7a, v24
	v_cndmask_b32_e32 v9, 0, v9, vcc_lo
	v_cmp_eq_u32_e32 vcc_lo, 0, v24
	s_delay_alu instid0(VALU_DEP_2) | instskip(SKIP_1) | instid1(VALU_DEP_2)
	v_cndmask_b32_e64 v30, v9, 0x78, vcc_lo
	v_cndmask_b32_e32 v7, v31, v7, vcc_lo
	v_add_nc_u32_e32 v9, 20, v30
	v_add_nc_u32_e32 v31, 19, v30
	s_delay_alu instid0(VALU_DEP_2) | instskip(NEXT) | instid1(VALU_DEP_1)
	v_lshlrev_b64 v[9:10], v9, -1
	v_not_b32_e32 v33, v9
	s_delay_alu instid0(VALU_DEP_2) | instskip(NEXT) | instid1(VALU_DEP_4)
	v_not_b32_e32 v32, v10
	v_lshlrev_b64 v[9:10], v31, 1
	s_delay_alu instid0(VALU_DEP_3) | instskip(SKIP_1) | instid1(VALU_DEP_4)
	v_and_b32_e32 v31, v7, v33
	v_lshrrev_b64 v[7:8], v30, v[7:8]
	v_and_b32_e32 v32, 0, v32
	s_delay_alu instid0(VALU_DEP_1) | instskip(NEXT) | instid1(VALU_DEP_3)
	v_cmp_eq_u64_e64 s0, v[31:32], v[9:10]
	v_dual_mov_b32 v10, v8 :: v_dual_mov_b32 v9, v7
	s_delay_alu instid0(VALU_DEP_2)
	s_and_saveexec_b32 s5, s0
; %bb.269:
	v_bfe_u32 v9, v7, 20, 1
	s_delay_alu instid0(VALU_DEP_1) | instskip(NEXT) | instid1(VALU_DEP_1)
	v_add_co_u32 v9, s0, v7, v9
	v_add_co_u32 v9, s0, v9, -1
; %bb.270:
	s_or_b32 exec_lo, exec_lo, s5
	v_add_nc_u32_e32 v10, 0xffffff81, v24
	v_lshrrev_b32_e32 v24, 23, v7
	s_delay_alu instid0(VALU_DEP_3) | instskip(SKIP_1) | instid1(VALU_DEP_3)
	v_and_b32_e32 v9, 0xfffff, v9
	s_mov_b32 s0, exec_lo
	v_cndmask_b32_e64 v10, v10, 0xffffff82, vcc_lo
	s_delay_alu instid0(VALU_DEP_2) | instskip(SKIP_1) | instid1(VALU_DEP_3)
	v_add_co_u32 v7, vcc_lo, v9, v7
	v_add_co_ci_u32_e32 v8, vcc_lo, 0, v8, vcc_lo
	v_add3_u32 v10, v30, v10, v24
                                        ; implicit-def: $vgpr9
	s_delay_alu instid0(VALU_DEP_1) | instskip(NEXT) | instid1(VALU_DEP_1)
	v_add_nc_u32_e32 v24, 6, v10
	v_cmpx_ne_u32_e32 0, v24
	s_xor_b32 s0, exec_lo, s0
; %bb.271:
	v_cmp_lt_u64_e32 vcc_lo, 0xffffff, v[7:8]
	v_add_nc_u32_e32 v9, 7, v10
	v_cndmask_b32_e64 v10, 0, 1, vcc_lo
	s_delay_alu instid0(VALU_DEP_2) | instskip(NEXT) | instid1(VALU_DEP_2)
	v_cndmask_b32_e32 v9, v24, v9, vcc_lo
	v_lshrrev_b64 v[7:8], v10, v[7:8]
; %bb.272:
	s_and_not1_saveexec_b32 s0, s0
; %bb.273:
	s_delay_alu instid0(VALU_DEP_1)
	v_bfe_u32 v9, v7, 23, 1
; %bb.274:
	s_or_b32 exec_lo, exec_lo, s0
	s_delay_alu instid0(VALU_DEP_2) | instskip(NEXT) | instid1(VALU_DEP_2)
	v_lshrrev_b64 v[7:8], 20, v[7:8]
	v_cmp_gt_i32_e32 vcc_lo, 16, v9
	v_cmp_ne_u32_e64 s0, 0, v9
                                        ; implicit-def: $vgpr24
	s_delay_alu instid0(VALU_DEP_3) | instskip(NEXT) | instid1(VALU_DEP_1)
	v_dual_cndmask_b32 v8, 0, v8 :: v_dual_cndmask_b32 v7, 7, v7
	v_cmp_ne_u64_e32 vcc_lo, 0, v[7:8]
	s_delay_alu instid0(VALU_DEP_3) | instskip(NEXT) | instid1(SALU_CYCLE_1)
	s_or_b32 s0, s0, vcc_lo
	s_and_saveexec_b32 s5, s0
	s_delay_alu instid0(SALU_CYCLE_1)
	s_xor_b32 s0, exec_lo, s5
; %bb.275:
	v_min_i32_e32 v8, 15, v9
	s_delay_alu instid0(VALU_DEP_1) | instskip(NEXT) | instid1(VALU_DEP_1)
	v_lshl_or_b32 v8, v8, 3, v29
                                        ; implicit-def: $vgpr29
	v_and_or_b32 v24, v7, 7, v8
; %bb.276:
	s_and_not1_saveexec_b32 s0, s0
; %bb.277:
	v_mov_b32_e32 v24, v29
; %bb.278:
	s_or_b32 exec_lo, exec_lo, s0
.LBB5_279:
	s_delay_alu instid0(SALU_CYCLE_1)
	s_or_b32 exec_lo, exec_lo, s4
.LBB5_280:
	s_and_not1_saveexec_b32 s0, s3
	s_delay_alu instid0(SALU_CYCLE_1)
	s_or_b32 exec_lo, exec_lo, s0
                                        ; implicit-def: $vgpr10
                                        ; implicit-def: $vgpr7_vgpr8
.LBB5_281:
	s_and_not1_saveexec_b32 s0, s2
; %bb.282:
	v_cmp_eq_u64_e32 vcc_lo, 0, v[7:8]
	v_or_b32_e32 v9, 0x7f, v10
	s_delay_alu instid0(VALU_DEP_1)
	v_cndmask_b32_e32 v24, v9, v24, vcc_lo
; %bb.283:
	s_or_b32 exec_lo, exec_lo, s0
	v_dual_mul_f32 v7, v14, v23 :: v_dual_mov_b32 v8, 0
	s_mov_b32 s0, 0xc3e00000
	s_delay_alu instid0(VALU_DEP_1) | instid1(SALU_CYCLE_1)
	v_maxmin_f32 v9, v7, s0, 0x43e00000
	s_mov_b32 s0, exec_lo
	s_delay_alu instid0(VALU_DEP_2) | instskip(NEXT) | instid1(VALU_DEP_2)
	v_mov_b32_e32 v31, v8
	v_lshrrev_b32_e32 v10, 24, v9
	v_and_b32_e32 v30, 0x7f800000, v9
	v_and_b32_e32 v7, 0x7fffff, v9
	s_delay_alu instid0(VALU_DEP_3) | instskip(NEXT) | instid1(VALU_DEP_1)
	v_and_b32_e32 v29, 0x80, v10
	v_or_b32_e32 v23, 0x7e, v29
	s_delay_alu instid0(VALU_DEP_4)
	v_cmpx_ne_u64_e32 0x7f800000, v[30:31]
	s_xor_b32 s2, exec_lo, s0
	s_cbranch_execz .LBB5_299
; %bb.284:
	v_dual_mov_b32 v31, v8 :: v_dual_and_b32 v30, 0x7fffffff, v9
	s_mov_b32 s0, exec_lo
	s_delay_alu instid0(VALU_DEP_1)
	v_cmpx_gt_u64_e32 0x43e00001, v[30:31]
	s_xor_b32 s3, exec_lo, s0
	s_cbranch_execz .LBB5_298
; %bb.285:
	v_mov_b32_e32 v23, 0
	s_mov_b32 s4, exec_lo
	v_cmpx_ne_u32_e32 0, v9
	s_cbranch_execz .LBB5_297
; %bb.286:
	v_bfe_u32 v23, v9, 23, 8
	v_or_b32_e32 v31, 0x800000, v7
	s_delay_alu instid0(VALU_DEP_2) | instskip(SKIP_1) | instid1(VALU_DEP_2)
	v_sub_nc_u32_e32 v9, 0x79, v23
	v_cmp_gt_u32_e32 vcc_lo, 0x7a, v23
	v_cndmask_b32_e32 v9, 0, v9, vcc_lo
	v_cmp_eq_u32_e32 vcc_lo, 0, v23
	s_delay_alu instid0(VALU_DEP_2) | instskip(SKIP_1) | instid1(VALU_DEP_2)
	v_cndmask_b32_e64 v30, v9, 0x78, vcc_lo
	v_cndmask_b32_e32 v7, v31, v7, vcc_lo
	v_add_nc_u32_e32 v9, 20, v30
	v_add_nc_u32_e32 v31, 19, v30
	s_delay_alu instid0(VALU_DEP_2) | instskip(NEXT) | instid1(VALU_DEP_1)
	v_lshlrev_b64 v[9:10], v9, -1
	v_not_b32_e32 v33, v9
	s_delay_alu instid0(VALU_DEP_2) | instskip(NEXT) | instid1(VALU_DEP_4)
	v_not_b32_e32 v32, v10
	v_lshlrev_b64 v[9:10], v31, 1
	s_delay_alu instid0(VALU_DEP_3) | instskip(SKIP_1) | instid1(VALU_DEP_4)
	v_and_b32_e32 v31, v7, v33
	v_lshrrev_b64 v[7:8], v30, v[7:8]
	v_and_b32_e32 v32, 0, v32
	s_delay_alu instid0(VALU_DEP_1) | instskip(NEXT) | instid1(VALU_DEP_3)
	v_cmp_eq_u64_e64 s0, v[31:32], v[9:10]
	v_dual_mov_b32 v10, v8 :: v_dual_mov_b32 v9, v7
	s_delay_alu instid0(VALU_DEP_2)
	s_and_saveexec_b32 s5, s0
; %bb.287:
	v_bfe_u32 v9, v7, 20, 1
	s_delay_alu instid0(VALU_DEP_1) | instskip(NEXT) | instid1(VALU_DEP_1)
	v_add_co_u32 v9, s0, v7, v9
	v_add_co_u32 v9, s0, v9, -1
; %bb.288:
	s_or_b32 exec_lo, exec_lo, s5
	v_add_nc_u32_e32 v10, 0xffffff81, v23
	v_lshrrev_b32_e32 v23, 23, v7
	s_delay_alu instid0(VALU_DEP_3) | instskip(SKIP_1) | instid1(VALU_DEP_3)
	v_and_b32_e32 v9, 0xfffff, v9
	s_mov_b32 s0, exec_lo
	v_cndmask_b32_e64 v10, v10, 0xffffff82, vcc_lo
	s_delay_alu instid0(VALU_DEP_2) | instskip(SKIP_1) | instid1(VALU_DEP_3)
	v_add_co_u32 v7, vcc_lo, v9, v7
	v_add_co_ci_u32_e32 v8, vcc_lo, 0, v8, vcc_lo
	v_add3_u32 v10, v30, v10, v23
                                        ; implicit-def: $vgpr9
	s_delay_alu instid0(VALU_DEP_1) | instskip(NEXT) | instid1(VALU_DEP_1)
	v_add_nc_u32_e32 v23, 6, v10
	v_cmpx_ne_u32_e32 0, v23
	s_xor_b32 s0, exec_lo, s0
; %bb.289:
	v_cmp_lt_u64_e32 vcc_lo, 0xffffff, v[7:8]
	v_add_nc_u32_e32 v9, 7, v10
	v_cndmask_b32_e64 v10, 0, 1, vcc_lo
	s_delay_alu instid0(VALU_DEP_2) | instskip(NEXT) | instid1(VALU_DEP_2)
	v_cndmask_b32_e32 v9, v23, v9, vcc_lo
	v_lshrrev_b64 v[7:8], v10, v[7:8]
; %bb.290:
	s_and_not1_saveexec_b32 s0, s0
; %bb.291:
	s_delay_alu instid0(VALU_DEP_1)
	v_bfe_u32 v9, v7, 23, 1
; %bb.292:
	s_or_b32 exec_lo, exec_lo, s0
	s_delay_alu instid0(VALU_DEP_2) | instskip(NEXT) | instid1(VALU_DEP_2)
	v_lshrrev_b64 v[7:8], 20, v[7:8]
	v_cmp_gt_i32_e32 vcc_lo, 16, v9
	v_cmp_ne_u32_e64 s0, 0, v9
                                        ; implicit-def: $vgpr23
	s_delay_alu instid0(VALU_DEP_3) | instskip(NEXT) | instid1(VALU_DEP_1)
	v_dual_cndmask_b32 v8, 0, v8 :: v_dual_cndmask_b32 v7, 7, v7
	v_cmp_ne_u64_e32 vcc_lo, 0, v[7:8]
	s_delay_alu instid0(VALU_DEP_3) | instskip(NEXT) | instid1(SALU_CYCLE_1)
	s_or_b32 s0, s0, vcc_lo
	s_and_saveexec_b32 s5, s0
	s_delay_alu instid0(SALU_CYCLE_1)
	s_xor_b32 s0, exec_lo, s5
; %bb.293:
	v_min_i32_e32 v8, 15, v9
	s_delay_alu instid0(VALU_DEP_1) | instskip(NEXT) | instid1(VALU_DEP_1)
	v_lshl_or_b32 v8, v8, 3, v29
                                        ; implicit-def: $vgpr29
	v_and_or_b32 v23, v7, 7, v8
; %bb.294:
	s_and_not1_saveexec_b32 s0, s0
; %bb.295:
	v_mov_b32_e32 v23, v29
; %bb.296:
	s_or_b32 exec_lo, exec_lo, s0
.LBB5_297:
	s_delay_alu instid0(SALU_CYCLE_1)
	s_or_b32 exec_lo, exec_lo, s4
.LBB5_298:
	s_and_not1_saveexec_b32 s0, s3
	s_delay_alu instid0(SALU_CYCLE_1)
	s_or_b32 exec_lo, exec_lo, s0
                                        ; implicit-def: $vgpr10
                                        ; implicit-def: $vgpr7_vgpr8
.LBB5_299:
	s_and_not1_saveexec_b32 s0, s2
; %bb.300:
	v_cmp_eq_u64_e32 vcc_lo, 0, v[7:8]
	v_or_b32_e32 v9, 0x7f, v10
	s_delay_alu instid0(VALU_DEP_1)
	v_cndmask_b32_e32 v23, v9, v23, vcc_lo
; %bb.301:
	s_or_b32 exec_lo, exec_lo, s0
	v_dual_mul_f32 v7, v14, v22 :: v_dual_mov_b32 v8, 0
	s_mov_b32 s0, 0xc3e00000
	s_delay_alu instid0(VALU_DEP_1) | instid1(SALU_CYCLE_1)
	v_maxmin_f32 v9, v7, s0, 0x43e00000
	s_mov_b32 s0, exec_lo
	s_delay_alu instid0(VALU_DEP_2) | instskip(NEXT) | instid1(VALU_DEP_2)
	v_mov_b32_e32 v31, v8
	v_lshrrev_b32_e32 v10, 24, v9
	v_and_b32_e32 v30, 0x7f800000, v9
	v_and_b32_e32 v7, 0x7fffff, v9
	s_delay_alu instid0(VALU_DEP_3) | instskip(NEXT) | instid1(VALU_DEP_1)
	v_and_b32_e32 v29, 0x80, v10
	v_or_b32_e32 v22, 0x7e, v29
	s_delay_alu instid0(VALU_DEP_4)
	v_cmpx_ne_u64_e32 0x7f800000, v[30:31]
	s_xor_b32 s2, exec_lo, s0
	s_cbranch_execz .LBB5_317
; %bb.302:
	v_dual_mov_b32 v31, v8 :: v_dual_and_b32 v30, 0x7fffffff, v9
	s_mov_b32 s0, exec_lo
	s_delay_alu instid0(VALU_DEP_1)
	v_cmpx_gt_u64_e32 0x43e00001, v[30:31]
	s_xor_b32 s3, exec_lo, s0
	s_cbranch_execz .LBB5_316
; %bb.303:
	v_mov_b32_e32 v22, 0
	s_mov_b32 s4, exec_lo
	v_cmpx_ne_u32_e32 0, v9
	s_cbranch_execz .LBB5_315
; %bb.304:
	v_bfe_u32 v22, v9, 23, 8
	v_or_b32_e32 v31, 0x800000, v7
	s_delay_alu instid0(VALU_DEP_2) | instskip(SKIP_1) | instid1(VALU_DEP_2)
	v_sub_nc_u32_e32 v9, 0x79, v22
	v_cmp_gt_u32_e32 vcc_lo, 0x7a, v22
	v_cndmask_b32_e32 v9, 0, v9, vcc_lo
	v_cmp_eq_u32_e32 vcc_lo, 0, v22
	s_delay_alu instid0(VALU_DEP_2) | instskip(SKIP_1) | instid1(VALU_DEP_2)
	v_cndmask_b32_e64 v30, v9, 0x78, vcc_lo
	v_cndmask_b32_e32 v7, v31, v7, vcc_lo
	v_add_nc_u32_e32 v9, 20, v30
	v_add_nc_u32_e32 v31, 19, v30
	s_delay_alu instid0(VALU_DEP_2) | instskip(NEXT) | instid1(VALU_DEP_1)
	v_lshlrev_b64 v[9:10], v9, -1
	v_not_b32_e32 v33, v9
	s_delay_alu instid0(VALU_DEP_2) | instskip(NEXT) | instid1(VALU_DEP_4)
	v_not_b32_e32 v32, v10
	v_lshlrev_b64 v[9:10], v31, 1
	s_delay_alu instid0(VALU_DEP_3) | instskip(SKIP_1) | instid1(VALU_DEP_4)
	v_and_b32_e32 v31, v7, v33
	v_lshrrev_b64 v[7:8], v30, v[7:8]
	v_and_b32_e32 v32, 0, v32
	s_delay_alu instid0(VALU_DEP_1) | instskip(NEXT) | instid1(VALU_DEP_3)
	v_cmp_eq_u64_e64 s0, v[31:32], v[9:10]
	v_dual_mov_b32 v10, v8 :: v_dual_mov_b32 v9, v7
	s_delay_alu instid0(VALU_DEP_2)
	s_and_saveexec_b32 s5, s0
; %bb.305:
	v_bfe_u32 v9, v7, 20, 1
	s_delay_alu instid0(VALU_DEP_1) | instskip(NEXT) | instid1(VALU_DEP_1)
	v_add_co_u32 v9, s0, v7, v9
	v_add_co_u32 v9, s0, v9, -1
; %bb.306:
	s_or_b32 exec_lo, exec_lo, s5
	v_add_nc_u32_e32 v10, 0xffffff81, v22
	v_lshrrev_b32_e32 v22, 23, v7
	s_delay_alu instid0(VALU_DEP_3) | instskip(SKIP_1) | instid1(VALU_DEP_3)
	v_and_b32_e32 v9, 0xfffff, v9
	s_mov_b32 s0, exec_lo
	v_cndmask_b32_e64 v10, v10, 0xffffff82, vcc_lo
	s_delay_alu instid0(VALU_DEP_2) | instskip(SKIP_1) | instid1(VALU_DEP_3)
	v_add_co_u32 v7, vcc_lo, v9, v7
	v_add_co_ci_u32_e32 v8, vcc_lo, 0, v8, vcc_lo
	v_add3_u32 v10, v30, v10, v22
                                        ; implicit-def: $vgpr9
	s_delay_alu instid0(VALU_DEP_1) | instskip(NEXT) | instid1(VALU_DEP_1)
	v_add_nc_u32_e32 v22, 6, v10
	v_cmpx_ne_u32_e32 0, v22
	s_xor_b32 s0, exec_lo, s0
; %bb.307:
	v_cmp_lt_u64_e32 vcc_lo, 0xffffff, v[7:8]
	v_add_nc_u32_e32 v9, 7, v10
	v_cndmask_b32_e64 v10, 0, 1, vcc_lo
	s_delay_alu instid0(VALU_DEP_2) | instskip(NEXT) | instid1(VALU_DEP_2)
	v_cndmask_b32_e32 v9, v22, v9, vcc_lo
	v_lshrrev_b64 v[7:8], v10, v[7:8]
; %bb.308:
	s_and_not1_saveexec_b32 s0, s0
; %bb.309:
	s_delay_alu instid0(VALU_DEP_1)
	v_bfe_u32 v9, v7, 23, 1
; %bb.310:
	s_or_b32 exec_lo, exec_lo, s0
	s_delay_alu instid0(VALU_DEP_2) | instskip(NEXT) | instid1(VALU_DEP_2)
	v_lshrrev_b64 v[7:8], 20, v[7:8]
	v_cmp_gt_i32_e32 vcc_lo, 16, v9
	v_cmp_ne_u32_e64 s0, 0, v9
                                        ; implicit-def: $vgpr22
	s_delay_alu instid0(VALU_DEP_3) | instskip(NEXT) | instid1(VALU_DEP_1)
	v_dual_cndmask_b32 v8, 0, v8 :: v_dual_cndmask_b32 v7, 7, v7
	v_cmp_ne_u64_e32 vcc_lo, 0, v[7:8]
	s_delay_alu instid0(VALU_DEP_3) | instskip(NEXT) | instid1(SALU_CYCLE_1)
	s_or_b32 s0, s0, vcc_lo
	s_and_saveexec_b32 s5, s0
	s_delay_alu instid0(SALU_CYCLE_1)
	s_xor_b32 s0, exec_lo, s5
; %bb.311:
	v_min_i32_e32 v8, 15, v9
	s_delay_alu instid0(VALU_DEP_1) | instskip(NEXT) | instid1(VALU_DEP_1)
	v_lshl_or_b32 v8, v8, 3, v29
                                        ; implicit-def: $vgpr29
	v_and_or_b32 v22, v7, 7, v8
; %bb.312:
	s_and_not1_saveexec_b32 s0, s0
; %bb.313:
	v_mov_b32_e32 v22, v29
; %bb.314:
	s_or_b32 exec_lo, exec_lo, s0
.LBB5_315:
	s_delay_alu instid0(SALU_CYCLE_1)
	s_or_b32 exec_lo, exec_lo, s4
.LBB5_316:
	s_and_not1_saveexec_b32 s0, s3
	s_delay_alu instid0(SALU_CYCLE_1)
	s_or_b32 exec_lo, exec_lo, s0
                                        ; implicit-def: $vgpr10
                                        ; implicit-def: $vgpr7_vgpr8
.LBB5_317:
	s_and_not1_saveexec_b32 s0, s2
; %bb.318:
	v_cmp_eq_u64_e32 vcc_lo, 0, v[7:8]
	v_or_b32_e32 v9, 0x7f, v10
	s_delay_alu instid0(VALU_DEP_1)
	v_cndmask_b32_e32 v22, v9, v22, vcc_lo
; %bb.319:
	s_or_b32 exec_lo, exec_lo, s0
	v_dual_mul_f32 v7, v14, v21 :: v_dual_mov_b32 v8, 0
	s_mov_b32 s0, 0xc3e00000
	s_delay_alu instid0(VALU_DEP_1) | instid1(SALU_CYCLE_1)
	v_maxmin_f32 v9, v7, s0, 0x43e00000
	s_mov_b32 s0, exec_lo
	s_delay_alu instid0(VALU_DEP_2) | instskip(NEXT) | instid1(VALU_DEP_2)
	v_mov_b32_e32 v31, v8
	v_lshrrev_b32_e32 v10, 24, v9
	v_and_b32_e32 v30, 0x7f800000, v9
	v_and_b32_e32 v7, 0x7fffff, v9
	s_delay_alu instid0(VALU_DEP_3) | instskip(NEXT) | instid1(VALU_DEP_1)
	v_and_b32_e32 v29, 0x80, v10
	v_or_b32_e32 v21, 0x7e, v29
	s_delay_alu instid0(VALU_DEP_4)
	v_cmpx_ne_u64_e32 0x7f800000, v[30:31]
	s_xor_b32 s2, exec_lo, s0
	s_cbranch_execz .LBB5_335
; %bb.320:
	v_dual_mov_b32 v31, v8 :: v_dual_and_b32 v30, 0x7fffffff, v9
	s_mov_b32 s0, exec_lo
	s_delay_alu instid0(VALU_DEP_1)
	v_cmpx_gt_u64_e32 0x43e00001, v[30:31]
	s_xor_b32 s3, exec_lo, s0
	s_cbranch_execz .LBB5_334
; %bb.321:
	v_mov_b32_e32 v21, 0
	s_mov_b32 s4, exec_lo
	v_cmpx_ne_u32_e32 0, v9
	s_cbranch_execz .LBB5_333
; %bb.322:
	v_bfe_u32 v21, v9, 23, 8
	v_or_b32_e32 v31, 0x800000, v7
	s_delay_alu instid0(VALU_DEP_2) | instskip(SKIP_1) | instid1(VALU_DEP_2)
	v_sub_nc_u32_e32 v9, 0x79, v21
	v_cmp_gt_u32_e32 vcc_lo, 0x7a, v21
	v_cndmask_b32_e32 v9, 0, v9, vcc_lo
	v_cmp_eq_u32_e32 vcc_lo, 0, v21
	s_delay_alu instid0(VALU_DEP_2) | instskip(SKIP_1) | instid1(VALU_DEP_2)
	v_cndmask_b32_e64 v30, v9, 0x78, vcc_lo
	v_cndmask_b32_e32 v7, v31, v7, vcc_lo
	v_add_nc_u32_e32 v9, 20, v30
	v_add_nc_u32_e32 v31, 19, v30
	s_delay_alu instid0(VALU_DEP_2) | instskip(NEXT) | instid1(VALU_DEP_1)
	v_lshlrev_b64 v[9:10], v9, -1
	v_not_b32_e32 v33, v9
	s_delay_alu instid0(VALU_DEP_2) | instskip(NEXT) | instid1(VALU_DEP_4)
	v_not_b32_e32 v32, v10
	v_lshlrev_b64 v[9:10], v31, 1
	s_delay_alu instid0(VALU_DEP_3) | instskip(SKIP_1) | instid1(VALU_DEP_4)
	v_and_b32_e32 v31, v7, v33
	v_lshrrev_b64 v[7:8], v30, v[7:8]
	v_and_b32_e32 v32, 0, v32
	s_delay_alu instid0(VALU_DEP_1) | instskip(NEXT) | instid1(VALU_DEP_3)
	v_cmp_eq_u64_e64 s0, v[31:32], v[9:10]
	v_dual_mov_b32 v10, v8 :: v_dual_mov_b32 v9, v7
	s_delay_alu instid0(VALU_DEP_2)
	s_and_saveexec_b32 s5, s0
; %bb.323:
	v_bfe_u32 v9, v7, 20, 1
	s_delay_alu instid0(VALU_DEP_1) | instskip(NEXT) | instid1(VALU_DEP_1)
	v_add_co_u32 v9, s0, v7, v9
	v_add_co_u32 v9, s0, v9, -1
; %bb.324:
	s_or_b32 exec_lo, exec_lo, s5
	v_add_nc_u32_e32 v10, 0xffffff81, v21
	v_lshrrev_b32_e32 v21, 23, v7
	s_delay_alu instid0(VALU_DEP_3) | instskip(SKIP_1) | instid1(VALU_DEP_3)
	v_and_b32_e32 v9, 0xfffff, v9
	s_mov_b32 s0, exec_lo
	v_cndmask_b32_e64 v10, v10, 0xffffff82, vcc_lo
	s_delay_alu instid0(VALU_DEP_2) | instskip(SKIP_1) | instid1(VALU_DEP_3)
	v_add_co_u32 v7, vcc_lo, v9, v7
	v_add_co_ci_u32_e32 v8, vcc_lo, 0, v8, vcc_lo
	v_add3_u32 v10, v30, v10, v21
                                        ; implicit-def: $vgpr9
	s_delay_alu instid0(VALU_DEP_1) | instskip(NEXT) | instid1(VALU_DEP_1)
	v_add_nc_u32_e32 v21, 6, v10
	v_cmpx_ne_u32_e32 0, v21
	s_xor_b32 s0, exec_lo, s0
; %bb.325:
	v_cmp_lt_u64_e32 vcc_lo, 0xffffff, v[7:8]
	v_add_nc_u32_e32 v9, 7, v10
	v_cndmask_b32_e64 v10, 0, 1, vcc_lo
	s_delay_alu instid0(VALU_DEP_2) | instskip(NEXT) | instid1(VALU_DEP_2)
	v_cndmask_b32_e32 v9, v21, v9, vcc_lo
	v_lshrrev_b64 v[7:8], v10, v[7:8]
; %bb.326:
	s_and_not1_saveexec_b32 s0, s0
; %bb.327:
	s_delay_alu instid0(VALU_DEP_1)
	v_bfe_u32 v9, v7, 23, 1
; %bb.328:
	s_or_b32 exec_lo, exec_lo, s0
	s_delay_alu instid0(VALU_DEP_2) | instskip(NEXT) | instid1(VALU_DEP_2)
	v_lshrrev_b64 v[7:8], 20, v[7:8]
	v_cmp_gt_i32_e32 vcc_lo, 16, v9
	v_cmp_ne_u32_e64 s0, 0, v9
                                        ; implicit-def: $vgpr21
	s_delay_alu instid0(VALU_DEP_3) | instskip(NEXT) | instid1(VALU_DEP_1)
	v_dual_cndmask_b32 v8, 0, v8 :: v_dual_cndmask_b32 v7, 7, v7
	v_cmp_ne_u64_e32 vcc_lo, 0, v[7:8]
	s_delay_alu instid0(VALU_DEP_3) | instskip(NEXT) | instid1(SALU_CYCLE_1)
	s_or_b32 s0, s0, vcc_lo
	s_and_saveexec_b32 s5, s0
	s_delay_alu instid0(SALU_CYCLE_1)
	s_xor_b32 s0, exec_lo, s5
; %bb.329:
	v_min_i32_e32 v8, 15, v9
	s_delay_alu instid0(VALU_DEP_1) | instskip(NEXT) | instid1(VALU_DEP_1)
	v_lshl_or_b32 v8, v8, 3, v29
                                        ; implicit-def: $vgpr29
	v_and_or_b32 v21, v7, 7, v8
; %bb.330:
	s_and_not1_saveexec_b32 s0, s0
; %bb.331:
	v_mov_b32_e32 v21, v29
; %bb.332:
	s_or_b32 exec_lo, exec_lo, s0
.LBB5_333:
	s_delay_alu instid0(SALU_CYCLE_1)
	s_or_b32 exec_lo, exec_lo, s4
.LBB5_334:
	s_and_not1_saveexec_b32 s0, s3
	s_delay_alu instid0(SALU_CYCLE_1)
	s_or_b32 exec_lo, exec_lo, s0
                                        ; implicit-def: $vgpr10
                                        ; implicit-def: $vgpr7_vgpr8
.LBB5_335:
	s_and_not1_saveexec_b32 s0, s2
; %bb.336:
	v_cmp_eq_u64_e32 vcc_lo, 0, v[7:8]
	v_or_b32_e32 v9, 0x7f, v10
	s_delay_alu instid0(VALU_DEP_1)
	v_cndmask_b32_e32 v21, v9, v21, vcc_lo
; %bb.337:
	s_or_b32 exec_lo, exec_lo, s0
	v_dual_mul_f32 v7, v14, v16 :: v_dual_mov_b32 v8, 0
	s_mov_b32 s0, 0xc3e00000
	s_delay_alu instid0(VALU_DEP_1) | instid1(SALU_CYCLE_1)
	v_maxmin_f32 v9, v7, s0, 0x43e00000
	s_mov_b32 s0, exec_lo
	s_delay_alu instid0(VALU_DEP_2) | instskip(NEXT) | instid1(VALU_DEP_2)
	v_mov_b32_e32 v31, v8
	v_lshrrev_b32_e32 v10, 24, v9
	v_and_b32_e32 v30, 0x7f800000, v9
	v_and_b32_e32 v7, 0x7fffff, v9
	s_delay_alu instid0(VALU_DEP_3) | instskip(NEXT) | instid1(VALU_DEP_1)
	v_and_b32_e32 v29, 0x80, v10
	v_or_b32_e32 v16, 0x7e, v29
	s_delay_alu instid0(VALU_DEP_4)
	v_cmpx_ne_u64_e32 0x7f800000, v[30:31]
	s_xor_b32 s2, exec_lo, s0
	s_cbranch_execz .LBB5_353
; %bb.338:
	v_dual_mov_b32 v31, v8 :: v_dual_and_b32 v30, 0x7fffffff, v9
	s_mov_b32 s0, exec_lo
	s_delay_alu instid0(VALU_DEP_1)
	v_cmpx_gt_u64_e32 0x43e00001, v[30:31]
	s_xor_b32 s3, exec_lo, s0
	s_cbranch_execz .LBB5_352
; %bb.339:
	v_mov_b32_e32 v16, 0
	s_mov_b32 s4, exec_lo
	v_cmpx_ne_u32_e32 0, v9
	s_cbranch_execz .LBB5_351
; %bb.340:
	v_bfe_u32 v16, v9, 23, 8
	v_or_b32_e32 v31, 0x800000, v7
	s_delay_alu instid0(VALU_DEP_2) | instskip(SKIP_1) | instid1(VALU_DEP_2)
	v_sub_nc_u32_e32 v9, 0x79, v16
	v_cmp_gt_u32_e32 vcc_lo, 0x7a, v16
	v_cndmask_b32_e32 v9, 0, v9, vcc_lo
	v_cmp_eq_u32_e32 vcc_lo, 0, v16
	s_delay_alu instid0(VALU_DEP_2) | instskip(SKIP_1) | instid1(VALU_DEP_2)
	v_cndmask_b32_e64 v30, v9, 0x78, vcc_lo
	v_cndmask_b32_e32 v7, v31, v7, vcc_lo
	v_add_nc_u32_e32 v9, 20, v30
	v_add_nc_u32_e32 v31, 19, v30
	s_delay_alu instid0(VALU_DEP_2) | instskip(NEXT) | instid1(VALU_DEP_1)
	v_lshlrev_b64 v[9:10], v9, -1
	v_not_b32_e32 v33, v9
	s_delay_alu instid0(VALU_DEP_2) | instskip(NEXT) | instid1(VALU_DEP_4)
	v_not_b32_e32 v32, v10
	v_lshlrev_b64 v[9:10], v31, 1
	s_delay_alu instid0(VALU_DEP_3) | instskip(SKIP_1) | instid1(VALU_DEP_4)
	v_and_b32_e32 v31, v7, v33
	v_lshrrev_b64 v[7:8], v30, v[7:8]
	v_and_b32_e32 v32, 0, v32
	s_delay_alu instid0(VALU_DEP_1) | instskip(NEXT) | instid1(VALU_DEP_3)
	v_cmp_eq_u64_e64 s0, v[31:32], v[9:10]
	v_dual_mov_b32 v10, v8 :: v_dual_mov_b32 v9, v7
	s_delay_alu instid0(VALU_DEP_2)
	s_and_saveexec_b32 s5, s0
; %bb.341:
	v_bfe_u32 v9, v7, 20, 1
	s_delay_alu instid0(VALU_DEP_1) | instskip(NEXT) | instid1(VALU_DEP_1)
	v_add_co_u32 v9, s0, v7, v9
	v_add_co_u32 v9, s0, v9, -1
; %bb.342:
	s_or_b32 exec_lo, exec_lo, s5
	v_add_nc_u32_e32 v10, 0xffffff81, v16
	v_lshrrev_b32_e32 v16, 23, v7
	s_delay_alu instid0(VALU_DEP_3) | instskip(SKIP_1) | instid1(VALU_DEP_3)
	v_and_b32_e32 v9, 0xfffff, v9
	s_mov_b32 s0, exec_lo
	v_cndmask_b32_e64 v10, v10, 0xffffff82, vcc_lo
	s_delay_alu instid0(VALU_DEP_2) | instskip(SKIP_1) | instid1(VALU_DEP_3)
	v_add_co_u32 v7, vcc_lo, v9, v7
	v_add_co_ci_u32_e32 v8, vcc_lo, 0, v8, vcc_lo
	v_add3_u32 v10, v30, v10, v16
                                        ; implicit-def: $vgpr9
	s_delay_alu instid0(VALU_DEP_1) | instskip(NEXT) | instid1(VALU_DEP_1)
	v_add_nc_u32_e32 v16, 6, v10
	v_cmpx_ne_u32_e32 0, v16
	s_xor_b32 s0, exec_lo, s0
; %bb.343:
	v_cmp_lt_u64_e32 vcc_lo, 0xffffff, v[7:8]
	v_add_nc_u32_e32 v9, 7, v10
	v_cndmask_b32_e64 v10, 0, 1, vcc_lo
	s_delay_alu instid0(VALU_DEP_2) | instskip(NEXT) | instid1(VALU_DEP_2)
	v_cndmask_b32_e32 v9, v16, v9, vcc_lo
	v_lshrrev_b64 v[7:8], v10, v[7:8]
; %bb.344:
	s_and_not1_saveexec_b32 s0, s0
; %bb.345:
	s_delay_alu instid0(VALU_DEP_1)
	v_bfe_u32 v9, v7, 23, 1
; %bb.346:
	s_or_b32 exec_lo, exec_lo, s0
	s_delay_alu instid0(VALU_DEP_2) | instskip(NEXT) | instid1(VALU_DEP_2)
	v_lshrrev_b64 v[7:8], 20, v[7:8]
	v_cmp_gt_i32_e32 vcc_lo, 16, v9
	v_cmp_ne_u32_e64 s0, 0, v9
                                        ; implicit-def: $vgpr16
	s_delay_alu instid0(VALU_DEP_3) | instskip(NEXT) | instid1(VALU_DEP_1)
	v_dual_cndmask_b32 v8, 0, v8 :: v_dual_cndmask_b32 v7, 7, v7
	v_cmp_ne_u64_e32 vcc_lo, 0, v[7:8]
	s_delay_alu instid0(VALU_DEP_3) | instskip(NEXT) | instid1(SALU_CYCLE_1)
	s_or_b32 s0, s0, vcc_lo
	s_and_saveexec_b32 s5, s0
	s_delay_alu instid0(SALU_CYCLE_1)
	s_xor_b32 s0, exec_lo, s5
; %bb.347:
	v_min_i32_e32 v8, 15, v9
	s_delay_alu instid0(VALU_DEP_1) | instskip(NEXT) | instid1(VALU_DEP_1)
	v_lshl_or_b32 v8, v8, 3, v29
                                        ; implicit-def: $vgpr29
	v_and_or_b32 v16, v7, 7, v8
; %bb.348:
	s_and_not1_saveexec_b32 s0, s0
; %bb.349:
	v_mov_b32_e32 v16, v29
; %bb.350:
	s_or_b32 exec_lo, exec_lo, s0
.LBB5_351:
	s_delay_alu instid0(SALU_CYCLE_1)
	s_or_b32 exec_lo, exec_lo, s4
.LBB5_352:
	s_and_not1_saveexec_b32 s0, s3
	s_delay_alu instid0(SALU_CYCLE_1)
	s_or_b32 exec_lo, exec_lo, s0
                                        ; implicit-def: $vgpr10
                                        ; implicit-def: $vgpr7_vgpr8
.LBB5_353:
	s_and_not1_saveexec_b32 s0, s2
; %bb.354:
	v_cmp_eq_u64_e32 vcc_lo, 0, v[7:8]
	v_or_b32_e32 v9, 0x7f, v10
	s_delay_alu instid0(VALU_DEP_1)
	v_cndmask_b32_e32 v16, v9, v16, vcc_lo
; %bb.355:
	s_or_b32 exec_lo, exec_lo, s0
	v_dual_mul_f32 v7, v14, v13 :: v_dual_mov_b32 v8, 0
	s_mov_b32 s0, 0xc3e00000
	s_delay_alu instid0(VALU_DEP_1) | instid1(SALU_CYCLE_1)
	v_maxmin_f32 v10, v7, s0, 0x43e00000
	s_mov_b32 s0, exec_lo
	s_delay_alu instid0(VALU_DEP_2) | instskip(NEXT) | instid1(VALU_DEP_2)
	v_mov_b32_e32 v30, v8
	v_lshrrev_b32_e32 v14, 24, v10
	v_and_b32_e32 v29, 0x7f800000, v10
	v_and_b32_e32 v7, 0x7fffff, v10
	s_delay_alu instid0(VALU_DEP_3) | instskip(NEXT) | instid1(VALU_DEP_1)
	v_and_b32_e32 v13, 0x80, v14
	v_or_b32_e32 v9, 0x7e, v13
	s_delay_alu instid0(VALU_DEP_4)
	v_cmpx_ne_u64_e32 0x7f800000, v[29:30]
	s_xor_b32 s2, exec_lo, s0
	s_cbranch_execz .LBB5_371
; %bb.356:
	v_dual_mov_b32 v30, v8 :: v_dual_and_b32 v29, 0x7fffffff, v10
	s_mov_b32 s0, exec_lo
	s_delay_alu instid0(VALU_DEP_1)
	v_cmpx_gt_u64_e32 0x43e00001, v[29:30]
	s_xor_b32 s3, exec_lo, s0
	s_cbranch_execz .LBB5_370
; %bb.357:
	v_mov_b32_e32 v9, 0
	s_mov_b32 s4, exec_lo
	v_cmpx_ne_u32_e32 0, v10
	s_cbranch_execz .LBB5_369
; %bb.358:
	v_bfe_u32 v14, v10, 23, 8
	v_or_b32_e32 v30, 0x800000, v7
	s_delay_alu instid0(VALU_DEP_2) | instskip(SKIP_1) | instid1(VALU_DEP_2)
	v_sub_nc_u32_e32 v9, 0x79, v14
	v_cmp_gt_u32_e32 vcc_lo, 0x7a, v14
	v_cndmask_b32_e32 v9, 0, v9, vcc_lo
	v_cmp_eq_u32_e32 vcc_lo, 0, v14
	s_delay_alu instid0(VALU_DEP_2) | instskip(NEXT) | instid1(VALU_DEP_1)
	v_cndmask_b32_e64 v29, v9, 0x78, vcc_lo
	v_dual_cndmask_b32 v7, v30, v7 :: v_dual_add_nc_u32 v30, 19, v29
	v_add_nc_u32_e32 v9, 20, v29
	s_delay_alu instid0(VALU_DEP_1) | instskip(NEXT) | instid1(VALU_DEP_1)
	v_lshlrev_b64 v[9:10], v9, -1
	v_not_b32_e32 v32, v9
	s_delay_alu instid0(VALU_DEP_2) | instskip(SKIP_1) | instid1(VALU_DEP_3)
	v_not_b32_e32 v31, v10
	v_lshlrev_b64 v[9:10], v30, 1
	v_and_b32_e32 v30, v7, v32
	v_lshrrev_b64 v[7:8], v29, v[7:8]
	s_delay_alu instid0(VALU_DEP_4) | instskip(NEXT) | instid1(VALU_DEP_1)
	v_and_b32_e32 v31, 0, v31
	v_cmp_eq_u64_e64 s0, v[30:31], v[9:10]
	s_delay_alu instid0(VALU_DEP_3) | instskip(NEXT) | instid1(VALU_DEP_2)
	v_dual_mov_b32 v10, v8 :: v_dual_mov_b32 v9, v7
	s_and_saveexec_b32 s5, s0
; %bb.359:
	v_bfe_u32 v9, v7, 20, 1
	s_delay_alu instid0(VALU_DEP_1) | instskip(NEXT) | instid1(VALU_DEP_1)
	v_add_co_u32 v9, s0, v7, v9
	v_add_co_u32 v9, s0, v9, -1
; %bb.360:
	s_or_b32 exec_lo, exec_lo, s5
	v_add_nc_u32_e32 v10, 0xffffff81, v14
	v_lshrrev_b32_e32 v14, 23, v7
	s_mov_b32 s0, exec_lo
	s_delay_alu instid0(VALU_DEP_2) | instskip(NEXT) | instid1(VALU_DEP_1)
	v_cndmask_b32_e64 v10, v10, 0xffffff82, vcc_lo
	v_add3_u32 v14, v29, v10, v14
	v_and_b32_e32 v10, 0xfffff, v9
	s_delay_alu instid0(VALU_DEP_2) | instskip(NEXT) | instid1(VALU_DEP_2)
	v_add_nc_u32_e32 v9, 6, v14
	v_add_co_u32 v7, vcc_lo, v10, v7
	v_add_co_ci_u32_e32 v8, vcc_lo, 0, v8, vcc_lo
                                        ; implicit-def: $vgpr10
	s_delay_alu instid0(VALU_DEP_3)
	v_cmpx_ne_u32_e32 0, v9
	s_xor_b32 s0, exec_lo, s0
; %bb.361:
	s_delay_alu instid0(VALU_DEP_2) | instskip(SKIP_1) | instid1(VALU_DEP_1)
	v_cmp_lt_u64_e32 vcc_lo, 0xffffff, v[7:8]
	v_add_nc_u32_e32 v10, 7, v14
	v_cndmask_b32_e32 v10, v9, v10, vcc_lo
	v_cndmask_b32_e64 v9, 0, 1, vcc_lo
	s_delay_alu instid0(VALU_DEP_1)
	v_lshrrev_b64 v[7:8], v9, v[7:8]
; %bb.362:
	s_and_not1_saveexec_b32 s0, s0
; %bb.363:
	s_delay_alu instid0(VALU_DEP_1)
	v_bfe_u32 v10, v7, 23, 1
; %bb.364:
	s_or_b32 exec_lo, exec_lo, s0
	s_delay_alu instid0(VALU_DEP_2) | instskip(NEXT) | instid1(VALU_DEP_2)
	v_lshrrev_b64 v[7:8], 20, v[7:8]
	v_cmp_gt_i32_e32 vcc_lo, 16, v10
	v_cmp_ne_u32_e64 s0, 0, v10
                                        ; implicit-def: $vgpr9
	s_delay_alu instid0(VALU_DEP_3) | instskip(NEXT) | instid1(VALU_DEP_1)
	v_dual_cndmask_b32 v8, 0, v8 :: v_dual_cndmask_b32 v7, 7, v7
	v_cmp_ne_u64_e32 vcc_lo, 0, v[7:8]
	s_delay_alu instid0(VALU_DEP_3) | instskip(NEXT) | instid1(SALU_CYCLE_1)
	s_or_b32 s0, s0, vcc_lo
	s_and_saveexec_b32 s5, s0
	s_delay_alu instid0(SALU_CYCLE_1)
	s_xor_b32 s0, exec_lo, s5
; %bb.365:
	v_min_i32_e32 v8, 15, v10
	s_delay_alu instid0(VALU_DEP_1) | instskip(NEXT) | instid1(VALU_DEP_1)
	v_lshl_or_b32 v8, v8, 3, v13
                                        ; implicit-def: $vgpr13
	v_and_or_b32 v9, v7, 7, v8
; %bb.366:
	s_and_not1_saveexec_b32 s0, s0
; %bb.367:
	v_mov_b32_e32 v9, v13
; %bb.368:
	s_or_b32 exec_lo, exec_lo, s0
.LBB5_369:
	s_delay_alu instid0(SALU_CYCLE_1)
	s_or_b32 exec_lo, exec_lo, s4
.LBB5_370:
	s_and_not1_saveexec_b32 s0, s3
	s_delay_alu instid0(SALU_CYCLE_1)
	s_or_b32 exec_lo, exec_lo, s0
                                        ; implicit-def: $vgpr14
                                        ; implicit-def: $vgpr7_vgpr8
.LBB5_371:
	s_and_not1_saveexec_b32 s0, s2
; %bb.372:
	v_cmp_eq_u64_e32 vcc_lo, 0, v[7:8]
	v_or_b32_e32 v10, 0x7f, v14
	s_delay_alu instid0(VALU_DEP_1)
	v_cndmask_b32_e32 v9, v10, v9, vcc_lo
; %bb.373:
	s_or_b32 exec_lo, exec_lo, s0
	v_mad_i64_i32 v[7:8], null, 0x240, s8, v[3:4]
	v_lshlrev_b64 v[5:6], 3, v[5:6]
	v_lshlrev_b16 v10, 8, v21
	v_and_b32_e32 v13, 0xff, v22
	v_lshlrev_b16 v9, 8, v9
	v_and_b32_e32 v14, 0xff, v16
	;; [unrolled: 2-line block ×3, first 2 shown]
	v_add_co_u32 v3, vcc_lo, v7, v5
	v_add_co_ci_u32_e32 v4, vcc_lo, v8, v6, vcc_lo
	v_or_b32_e32 v5, v13, v10
	v_or_b32_e32 v6, v14, v9
	;; [unrolled: 1-line block ×3, first 2 shown]
	v_lshlrev_b16 v8, 8, v23
	v_and_b32_e32 v9, 0xff, v24
	v_lshlrev_b16 v10, 8, v20
	v_and_b32_e32 v13, 0xff, v19
	;; [unrolled: 2-line block ×5, first 2 shown]
	v_or_b32_e32 v8, v9, v8
	v_or_b32_e32 v9, v13, v10
	;; [unrolled: 1-line block ×5, first 2 shown]
	v_and_b32_e32 v5, 0xffff, v5
	v_lshlrev_b32_e32 v6, 16, v6
	v_and_b32_e32 v7, 0xffff, v7
	v_lshlrev_b32_e32 v14, 16, v8
	;; [unrolled: 2-line block ×4, first 2 shown]
	v_add_co_u32 v1, vcc_lo, v1, v37
	v_add_co_ci_u32_e32 v2, vcc_lo, 0, v2, vcc_lo
	v_and_b32_e32 v0, 3, v0
	v_or_b32_e32 v8, v5, v6
	v_or_b32_e32 v7, v7, v14
	;; [unrolled: 1-line block ×4, first 2 shown]
	s_mov_b32 s0, exec_lo
	global_store_b128 v[1:2], v[5:8], off
	v_cmpx_eq_u32_e32 0, v0
	s_cbranch_execz .LBB5_375
; %bb.374:
	v_add_f32_e32 v0, 0x42fe0000, v11
	v_lshrrev_b32_e32 v1, 2, v38
	s_delay_alu instid0(VALU_DEP_2) | instskip(NEXT) | instid1(VALU_DEP_1)
	v_minmax_f32 v0, v0, 0x437f0000, 0
	v_cvt_i32_f32_e32 v2, v0
	s_delay_alu instid0(VALU_DEP_3)
	v_add_co_u32 v0, vcc_lo, v3, v1
	v_add_co_ci_u32_e32 v1, vcc_lo, 0, v4, vcc_lo
	global_store_b8 v[0:1], v2, off
.LBB5_375:
	s_or_b32 exec_lo, exec_lo, s0
	s_delay_alu instid0(SALU_CYCLE_1)
	s_mov_b32 s0, exec_lo
	v_cmpx_eq_u32_e32 0, v38
	s_cbranch_execz .LBB5_377
; %bb.376:
	v_mov_b32_e32 v0, 0
	global_store_b8 v[3:4], v0, off offset:7
.LBB5_377:
	s_or_b32 exec_lo, exec_lo, s0
                                        ; implicit-def: $vgpr37
                                        ; implicit-def: $vgpr34
                                        ; implicit-def: $vgpr35
                                        ; implicit-def: $vgpr39
                                        ; implicit-def: $vgpr40
                                        ; implicit-def: $vgpr41
                                        ; implicit-def: $vgpr42
                                        ; implicit-def: $vgpr43
                                        ; implicit-def: $vgpr44
                                        ; implicit-def: $vgpr45
                                        ; implicit-def: $vgpr46
                                        ; implicit-def: $vgpr47
                                        ; implicit-def: $vgpr48
                                        ; implicit-def: $vgpr49
                                        ; implicit-def: $vgpr50
                                        ; implicit-def: $vgpr51
                                        ; implicit-def: $vgpr52
                                        ; implicit-def: $vgpr1_vgpr2
.LBB5_378:
	s_and_not1_saveexec_b32 s0, s1
	s_cbranch_execz .LBB5_380
; %bb.379:
	v_lshlrev_b32_e32 v0, 1, v37
	v_perm_b32 v3, v44, v43, 0x7060302
	v_perm_b32 v7, v52, v51, 0x7060302
	;; [unrolled: 1-line block ×4, first 2 shown]
	s_waitcnt lgkmcnt(0)
	v_add_co_u32 v8, vcc_lo, v1, v0
	v_add_co_ci_u32_e32 v9, vcc_lo, 0, v2, vcc_lo
	v_perm_b32 v2, v42, v41, 0x7060302
	v_perm_b32 v1, v40, v39, 0x7060302
	;; [unrolled: 1-line block ×4, first 2 shown]
	s_clause 0x1
	global_store_b128 v[8:9], v[0:3], off offset:-448
	global_store_b128 v[8:9], v[4:7], off offset:-432
.LBB5_380:
	s_or_b32 exec_lo, exec_lo, s7
                                        ; implicit-def: $vgpr33
                                        ; implicit-def: $vgpr35
                                        ; implicit-def: $vgpr37
                                        ; implicit-def: $vgpr1_vgpr2_vgpr3_vgpr4_vgpr5_vgpr6_vgpr7_vgpr8_vgpr9_vgpr10_vgpr11_vgpr12_vgpr13_vgpr14_vgpr15_vgpr16
	s_and_not1_saveexec_b32 s0, s6
	s_cbranch_execz .LBB5_446
.LBB5_381:
	v_and_b32_e32 v0, 0x7f800000, v1
	s_delay_alu instid0(VALU_DEP_1) | instskip(SKIP_1) | instid1(SALU_CYCLE_1)
	v_cmp_ne_u32_e32 vcc_lo, 0x7f800000, v0
                                        ; implicit-def: $vgpr0
	s_and_saveexec_b32 s1, vcc_lo
	s_xor_b32 s1, exec_lo, s1
; %bb.382:
	v_bfe_u32 v0, v1, 16, 1
	s_delay_alu instid0(VALU_DEP_1)
	v_add3_u32 v0, v1, v0, 0x7fff
; %bb.383:
	s_and_not1_saveexec_b32 s1, s1
; %bb.384:
	v_and_b32_e32 v0, 0xffff, v1
	v_or_b32_e32 v17, 0x10000, v1
	s_delay_alu instid0(VALU_DEP_2) | instskip(NEXT) | instid1(VALU_DEP_2)
	v_cmp_eq_u32_e32 vcc_lo, 0, v0
	v_cndmask_b32_e32 v0, v17, v1, vcc_lo
; %bb.385:
	s_or_b32 exec_lo, exec_lo, s1
	v_and_b32_e32 v1, 0x7f800000, v2
	s_mov_b32 s1, exec_lo
                                        ; implicit-def: $vgpr17
	s_delay_alu instid0(VALU_DEP_1)
	v_cmpx_ne_u32_e32 0x7f800000, v1
	s_xor_b32 s1, exec_lo, s1
; %bb.386:
	v_bfe_u32 v1, v2, 16, 1
	s_delay_alu instid0(VALU_DEP_1)
	v_add3_u32 v17, v2, v1, 0x7fff
; %bb.387:
	s_and_not1_saveexec_b32 s1, s1
; %bb.388:
	v_and_b32_e32 v1, 0xffff, v2
	v_or_b32_e32 v17, 0x10000, v2
	s_delay_alu instid0(VALU_DEP_2) | instskip(NEXT) | instid1(VALU_DEP_2)
	v_cmp_eq_u32_e32 vcc_lo, 0, v1
	v_cndmask_b32_e32 v17, v17, v2, vcc_lo
; %bb.389:
	s_or_b32 exec_lo, exec_lo, s1
	v_and_b32_e32 v1, 0x7f800000, v3
	s_mov_b32 s1, exec_lo
                                        ; implicit-def: $vgpr18
	s_delay_alu instid0(VALU_DEP_1)
	v_cmpx_ne_u32_e32 0x7f800000, v1
	s_xor_b32 s1, exec_lo, s1
; %bb.390:
	v_bfe_u32 v1, v3, 16, 1
	s_delay_alu instid0(VALU_DEP_1)
	v_add3_u32 v18, v3, v1, 0x7fff
; %bb.391:
	s_and_not1_saveexec_b32 s1, s1
; %bb.392:
	v_and_b32_e32 v1, 0xffff, v3
	v_or_b32_e32 v2, 0x10000, v3
	s_delay_alu instid0(VALU_DEP_2) | instskip(NEXT) | instid1(VALU_DEP_2)
	v_cmp_eq_u32_e32 vcc_lo, 0, v1
	v_cndmask_b32_e32 v18, v2, v3, vcc_lo
; %bb.393:
	s_or_b32 exec_lo, exec_lo, s1
	v_and_b32_e32 v1, 0x7f800000, v4
	s_mov_b32 s1, exec_lo
                                        ; implicit-def: $vgpr19
	s_delay_alu instid0(VALU_DEP_1)
	v_cmpx_ne_u32_e32 0x7f800000, v1
	s_xor_b32 s1, exec_lo, s1
; %bb.394:
	v_bfe_u32 v1, v4, 16, 1
	s_delay_alu instid0(VALU_DEP_1)
	v_add3_u32 v19, v4, v1, 0x7fff
; %bb.395:
	s_and_not1_saveexec_b32 s1, s1
; %bb.396:
	v_and_b32_e32 v1, 0xffff, v4
	v_or_b32_e32 v2, 0x10000, v4
	s_delay_alu instid0(VALU_DEP_2) | instskip(NEXT) | instid1(VALU_DEP_2)
	v_cmp_eq_u32_e32 vcc_lo, 0, v1
	v_cndmask_b32_e32 v19, v2, v4, vcc_lo
; %bb.397:
	s_or_b32 exec_lo, exec_lo, s1
	v_and_b32_e32 v1, 0x7f800000, v5
	s_mov_b32 s1, exec_lo
                                        ; implicit-def: $vgpr20
	s_delay_alu instid0(VALU_DEP_1)
	v_cmpx_ne_u32_e32 0x7f800000, v1
	s_xor_b32 s1, exec_lo, s1
; %bb.398:
	v_bfe_u32 v1, v5, 16, 1
	s_delay_alu instid0(VALU_DEP_1)
	v_add3_u32 v20, v5, v1, 0x7fff
; %bb.399:
	s_and_not1_saveexec_b32 s1, s1
; %bb.400:
	v_and_b32_e32 v1, 0xffff, v5
	v_or_b32_e32 v2, 0x10000, v5
	s_delay_alu instid0(VALU_DEP_2) | instskip(NEXT) | instid1(VALU_DEP_2)
	v_cmp_eq_u32_e32 vcc_lo, 0, v1
	v_cndmask_b32_e32 v20, v2, v5, vcc_lo
; %bb.401:
	s_or_b32 exec_lo, exec_lo, s1
	v_and_b32_e32 v1, 0x7f800000, v6
	s_mov_b32 s1, exec_lo
                                        ; implicit-def: $vgpr21
	s_delay_alu instid0(VALU_DEP_1)
	v_cmpx_ne_u32_e32 0x7f800000, v1
	s_xor_b32 s1, exec_lo, s1
; %bb.402:
	v_bfe_u32 v1, v6, 16, 1
	s_delay_alu instid0(VALU_DEP_1)
	v_add3_u32 v21, v6, v1, 0x7fff
; %bb.403:
	s_and_not1_saveexec_b32 s1, s1
; %bb.404:
	v_and_b32_e32 v1, 0xffff, v6
	v_or_b32_e32 v2, 0x10000, v6
	s_delay_alu instid0(VALU_DEP_2) | instskip(NEXT) | instid1(VALU_DEP_2)
	v_cmp_eq_u32_e32 vcc_lo, 0, v1
	v_cndmask_b32_e32 v21, v2, v6, vcc_lo
; %bb.405:
	s_or_b32 exec_lo, exec_lo, s1
	v_and_b32_e32 v1, 0x7f800000, v7
	s_mov_b32 s1, exec_lo
                                        ; implicit-def: $vgpr22
	s_delay_alu instid0(VALU_DEP_1)
	v_cmpx_ne_u32_e32 0x7f800000, v1
	s_xor_b32 s1, exec_lo, s1
; %bb.406:
	v_bfe_u32 v1, v7, 16, 1
	s_delay_alu instid0(VALU_DEP_1)
	v_add3_u32 v22, v7, v1, 0x7fff
; %bb.407:
	s_and_not1_saveexec_b32 s1, s1
; %bb.408:
	v_and_b32_e32 v1, 0xffff, v7
	v_or_b32_e32 v2, 0x10000, v7
	s_delay_alu instid0(VALU_DEP_2) | instskip(NEXT) | instid1(VALU_DEP_2)
	v_cmp_eq_u32_e32 vcc_lo, 0, v1
	v_cndmask_b32_e32 v22, v2, v7, vcc_lo
; %bb.409:
	s_or_b32 exec_lo, exec_lo, s1
	s_waitcnt lgkmcnt(0)
	v_and_b32_e32 v1, 0x7f800000, v8
	s_mov_b32 s1, exec_lo
                                        ; implicit-def: $vgpr23
	s_delay_alu instid0(VALU_DEP_1)
	v_cmpx_ne_u32_e32 0x7f800000, v1
	s_xor_b32 s1, exec_lo, s1
; %bb.410:
	v_bfe_u32 v1, v8, 16, 1
	s_delay_alu instid0(VALU_DEP_1)
	v_add3_u32 v23, v8, v1, 0x7fff
; %bb.411:
	s_and_not1_saveexec_b32 s1, s1
; %bb.412:
	v_and_b32_e32 v1, 0xffff, v8
	v_or_b32_e32 v2, 0x10000, v8
	s_delay_alu instid0(VALU_DEP_2) | instskip(NEXT) | instid1(VALU_DEP_2)
	v_cmp_eq_u32_e32 vcc_lo, 0, v1
	v_cndmask_b32_e32 v23, v2, v8, vcc_lo
; %bb.413:
	s_or_b32 exec_lo, exec_lo, s1
	v_and_b32_e32 v1, 0x7f800000, v9
	s_mov_b32 s1, exec_lo
                                        ; implicit-def: $vgpr24
	s_delay_alu instid0(VALU_DEP_1)
	v_cmpx_ne_u32_e32 0x7f800000, v1
	s_xor_b32 s1, exec_lo, s1
; %bb.414:
	v_bfe_u32 v1, v9, 16, 1
	s_delay_alu instid0(VALU_DEP_1)
	v_add3_u32 v24, v9, v1, 0x7fff
; %bb.415:
	s_and_not1_saveexec_b32 s1, s1
; %bb.416:
	v_and_b32_e32 v1, 0xffff, v9
	v_or_b32_e32 v2, 0x10000, v9
	s_delay_alu instid0(VALU_DEP_2) | instskip(NEXT) | instid1(VALU_DEP_2)
	v_cmp_eq_u32_e32 vcc_lo, 0, v1
	v_cndmask_b32_e32 v24, v2, v9, vcc_lo
; %bb.417:
	s_or_b32 exec_lo, exec_lo, s1
	v_and_b32_e32 v1, 0x7f800000, v10
	s_mov_b32 s1, exec_lo
                                        ; implicit-def: $vgpr25
	s_delay_alu instid0(VALU_DEP_1)
	v_cmpx_ne_u32_e32 0x7f800000, v1
	s_xor_b32 s1, exec_lo, s1
; %bb.418:
	v_bfe_u32 v1, v10, 16, 1
	s_delay_alu instid0(VALU_DEP_1)
	v_add3_u32 v25, v10, v1, 0x7fff
; %bb.419:
	s_and_not1_saveexec_b32 s1, s1
; %bb.420:
	v_and_b32_e32 v1, 0xffff, v10
	v_or_b32_e32 v2, 0x10000, v10
	s_delay_alu instid0(VALU_DEP_2) | instskip(NEXT) | instid1(VALU_DEP_2)
	v_cmp_eq_u32_e32 vcc_lo, 0, v1
	v_cndmask_b32_e32 v25, v2, v10, vcc_lo
; %bb.421:
	s_or_b32 exec_lo, exec_lo, s1
	v_and_b32_e32 v1, 0x7f800000, v11
	s_mov_b32 s1, exec_lo
                                        ; implicit-def: $vgpr26
	s_delay_alu instid0(VALU_DEP_1)
	v_cmpx_ne_u32_e32 0x7f800000, v1
	s_xor_b32 s1, exec_lo, s1
; %bb.422:
	v_bfe_u32 v1, v11, 16, 1
	s_delay_alu instid0(VALU_DEP_1)
	v_add3_u32 v26, v11, v1, 0x7fff
; %bb.423:
	s_and_not1_saveexec_b32 s1, s1
; %bb.424:
	v_and_b32_e32 v1, 0xffff, v11
	v_or_b32_e32 v2, 0x10000, v11
	s_delay_alu instid0(VALU_DEP_2) | instskip(NEXT) | instid1(VALU_DEP_2)
	v_cmp_eq_u32_e32 vcc_lo, 0, v1
	v_cndmask_b32_e32 v26, v2, v11, vcc_lo
; %bb.425:
	s_or_b32 exec_lo, exec_lo, s1
	v_and_b32_e32 v1, 0x7f800000, v12
	s_mov_b32 s1, exec_lo
                                        ; implicit-def: $vgpr27
	s_delay_alu instid0(VALU_DEP_1)
	v_cmpx_ne_u32_e32 0x7f800000, v1
	s_xor_b32 s1, exec_lo, s1
; %bb.426:
	v_bfe_u32 v1, v12, 16, 1
	s_delay_alu instid0(VALU_DEP_1)
	v_add3_u32 v27, v12, v1, 0x7fff
; %bb.427:
	s_and_not1_saveexec_b32 s1, s1
; %bb.428:
	v_and_b32_e32 v1, 0xffff, v12
	v_or_b32_e32 v2, 0x10000, v12
	s_delay_alu instid0(VALU_DEP_2) | instskip(NEXT) | instid1(VALU_DEP_2)
	v_cmp_eq_u32_e32 vcc_lo, 0, v1
	v_cndmask_b32_e32 v27, v2, v12, vcc_lo
; %bb.429:
	s_or_b32 exec_lo, exec_lo, s1
	v_and_b32_e32 v1, 0x7f800000, v13
	s_mov_b32 s1, exec_lo
                                        ; implicit-def: $vgpr28
	s_delay_alu instid0(VALU_DEP_1)
	v_cmpx_ne_u32_e32 0x7f800000, v1
	s_xor_b32 s1, exec_lo, s1
; %bb.430:
	v_bfe_u32 v1, v13, 16, 1
	s_delay_alu instid0(VALU_DEP_1)
	v_add3_u32 v28, v13, v1, 0x7fff
; %bb.431:
	s_and_not1_saveexec_b32 s1, s1
; %bb.432:
	v_and_b32_e32 v1, 0xffff, v13
	v_or_b32_e32 v2, 0x10000, v13
	s_delay_alu instid0(VALU_DEP_2) | instskip(NEXT) | instid1(VALU_DEP_2)
	v_cmp_eq_u32_e32 vcc_lo, 0, v1
	v_cndmask_b32_e32 v28, v2, v13, vcc_lo
; %bb.433:
	s_or_b32 exec_lo, exec_lo, s1
	v_and_b32_e32 v1, 0x7f800000, v14
	s_mov_b32 s1, exec_lo
                                        ; implicit-def: $vgpr29
	s_delay_alu instid0(VALU_DEP_1)
	v_cmpx_ne_u32_e32 0x7f800000, v1
	s_xor_b32 s1, exec_lo, s1
; %bb.434:
	v_bfe_u32 v1, v14, 16, 1
	s_delay_alu instid0(VALU_DEP_1)
	v_add3_u32 v29, v14, v1, 0x7fff
; %bb.435:
	s_and_not1_saveexec_b32 s1, s1
; %bb.436:
	v_and_b32_e32 v1, 0xffff, v14
	v_or_b32_e32 v2, 0x10000, v14
	s_delay_alu instid0(VALU_DEP_2) | instskip(NEXT) | instid1(VALU_DEP_2)
	v_cmp_eq_u32_e32 vcc_lo, 0, v1
	v_cndmask_b32_e32 v29, v2, v14, vcc_lo
; %bb.437:
	s_or_b32 exec_lo, exec_lo, s1
	v_and_b32_e32 v1, 0x7f800000, v15
	s_mov_b32 s1, exec_lo
                                        ; implicit-def: $vgpr30
	s_delay_alu instid0(VALU_DEP_1)
	v_cmpx_ne_u32_e32 0x7f800000, v1
	s_xor_b32 s1, exec_lo, s1
; %bb.438:
	v_bfe_u32 v1, v15, 16, 1
	s_delay_alu instid0(VALU_DEP_1)
	v_add3_u32 v30, v15, v1, 0x7fff
; %bb.439:
	s_and_not1_saveexec_b32 s1, s1
; %bb.440:
	v_and_b32_e32 v1, 0xffff, v15
	v_or_b32_e32 v2, 0x10000, v15
	s_delay_alu instid0(VALU_DEP_2) | instskip(NEXT) | instid1(VALU_DEP_2)
	v_cmp_eq_u32_e32 vcc_lo, 0, v1
	v_cndmask_b32_e32 v30, v2, v15, vcc_lo
; %bb.441:
	s_or_b32 exec_lo, exec_lo, s1
	v_and_b32_e32 v1, 0x7f800000, v16
	s_mov_b32 s1, exec_lo
                                        ; implicit-def: $vgpr31
	s_delay_alu instid0(VALU_DEP_1)
	v_cmpx_ne_u32_e32 0x7f800000, v1
	s_xor_b32 s1, exec_lo, s1
; %bb.442:
	v_bfe_u32 v1, v16, 16, 1
	s_delay_alu instid0(VALU_DEP_1)
	v_add3_u32 v31, v16, v1, 0x7fff
                                        ; implicit-def: $vgpr1_vgpr2_vgpr3_vgpr4_vgpr5_vgpr6_vgpr7_vgpr8_vgpr9_vgpr10_vgpr11_vgpr12_vgpr13_vgpr14_vgpr15_vgpr16
; %bb.443:
	s_and_not1_saveexec_b32 s1, s1
; %bb.444:
	v_and_b32_e32 v1, 0xffff, v16
	v_or_b32_e32 v2, 0x10000, v16
	s_delay_alu instid0(VALU_DEP_2) | instskip(NEXT) | instid1(VALU_DEP_2)
	v_cmp_eq_u32_e32 vcc_lo, 0, v1
	v_cndmask_b32_e32 v31, v2, v16, vcc_lo
; %bb.445:
	s_or_b32 exec_lo, exec_lo, s1
	v_ashrrev_i32_e32 v36, 31, v35
	v_lshlrev_b64 v[1:2], 13, v[33:34]
	v_lshlrev_b32_e32 v5, 1, v37
	v_perm_b32 v0, v17, v0, 0x7060302
	v_perm_b32 v7, v31, v30, 0x7060302
	v_lshlrev_b64 v[3:4], 10, v[35:36]
	v_perm_b32 v6, v29, v28, 0x7060302
	v_add_co_u32 v1, vcc_lo, s12, v1
	v_add_co_ci_u32_e32 v2, vcc_lo, s13, v2, vcc_lo
	s_delay_alu instid0(VALU_DEP_2) | instskip(NEXT) | instid1(VALU_DEP_2)
	v_add_co_u32 v1, vcc_lo, v1, v3
	v_add_co_ci_u32_e32 v2, vcc_lo, v2, v4, vcc_lo
	v_perm_b32 v3, v23, v22, 0x7060302
	s_delay_alu instid0(VALU_DEP_3) | instskip(NEXT) | instid1(VALU_DEP_3)
	v_add_co_u32 v8, vcc_lo, v1, v5
	v_add_co_ci_u32_e32 v9, vcc_lo, 0, v2, vcc_lo
	v_perm_b32 v2, v21, v20, 0x7060302
	v_perm_b32 v1, v19, v18, 0x7060302
	;; [unrolled: 1-line block ×4, first 2 shown]
	s_clause 0x1
	global_store_b128 v[8:9], v[0:3], off
	global_store_b128 v[8:9], v[4:7], off offset:16
.LBB5_446:
	s_or_b32 exec_lo, exec_lo, s0
                                        ; implicit-def: $vgpr33
                                        ; implicit-def: $vgpr35
                                        ; implicit-def: $vgpr37
.LBB5_447:
	s_and_not1_saveexec_b32 s0, s9
	s_cbranch_execz .LBB5_449
; %bb.448:
	v_ashrrev_i32_e32 v36, 31, v35
	v_lshlrev_b64 v[0:1], 13, v[33:34]
	s_mov_b32 s0, 0
	s_delay_alu instid0(SALU_CYCLE_1) | instskip(NEXT) | instid1(VALU_DEP_2)
	s_mov_b32 s1, s0
	v_lshlrev_b64 v[2:3], 10, v[35:36]
	s_mov_b32 s2, s0
	s_waitcnt lgkmcnt(0)
	v_add_co_u32 v0, vcc_lo, s12, v0
	v_add_co_ci_u32_e32 v1, vcc_lo, s13, v1, vcc_lo
	s_mov_b32 s3, s0
	v_lshlrev_b32_e32 v4, 1, v37
	s_waitcnt vmcnt(1)
	v_add_co_u32 v5, vcc_lo, v0, v2
	v_add_co_ci_u32_e32 v6, vcc_lo, v1, v3, vcc_lo
	v_dual_mov_b32 v0, s0 :: v_dual_mov_b32 v3, s3
	v_mov_b32_e32 v1, s1
	s_delay_alu instid0(VALU_DEP_4)
	v_add_co_u32 v4, vcc_lo, v5, v4
	v_mov_b32_e32 v2, s2
	v_add_co_ci_u32_e32 v5, vcc_lo, 0, v6, vcc_lo
	s_clause 0x1
	global_store_b128 v[4:5], v[0:3], off
	global_store_b128 v[4:5], v[0:3], off offset:16
.LBB5_449:
	s_nop 0
	s_sendmsg sendmsg(MSG_DEALLOC_VGPRS)
	s_endpgm
	.section	.rodata,"a",@progbits
	.p2align	6, 0x0
	.amdhsa_kernel _ZN4vllm21deepseek_v4_fused_ops47fusedDeepseekV4QNormRopeKVRopeQuantInsertKernelIN3c108BFloat16ELi8EEEvPKT_PS4_S6_PhPKlSA_PKffiiiii
		.amdhsa_group_segment_fixed_size 0
		.amdhsa_private_segment_fixed_size 0
		.amdhsa_kernarg_size 336
		.amdhsa_user_sgpr_count 15
		.amdhsa_user_sgpr_dispatch_ptr 0
		.amdhsa_user_sgpr_queue_ptr 0
		.amdhsa_user_sgpr_kernarg_segment_ptr 1
		.amdhsa_user_sgpr_dispatch_id 0
		.amdhsa_user_sgpr_private_segment_size 0
		.amdhsa_wavefront_size32 1
		.amdhsa_uses_dynamic_stack 0
		.amdhsa_enable_private_segment 0
		.amdhsa_system_sgpr_workgroup_id_x 1
		.amdhsa_system_sgpr_workgroup_id_y 0
		.amdhsa_system_sgpr_workgroup_id_z 0
		.amdhsa_system_sgpr_workgroup_info 0
		.amdhsa_system_vgpr_workitem_id 0
		.amdhsa_next_free_vgpr 53
		.amdhsa_next_free_sgpr 22
		.amdhsa_reserve_vcc 1
		.amdhsa_float_round_mode_32 0
		.amdhsa_float_round_mode_16_64 0
		.amdhsa_float_denorm_mode_32 3
		.amdhsa_float_denorm_mode_16_64 3
		.amdhsa_dx10_clamp 1
		.amdhsa_ieee_mode 1
		.amdhsa_fp16_overflow 0
		.amdhsa_workgroup_processor_mode 1
		.amdhsa_memory_ordered 1
		.amdhsa_forward_progress 0
		.amdhsa_shared_vgpr_count 0
		.amdhsa_exception_fp_ieee_invalid_op 0
		.amdhsa_exception_fp_denorm_src 0
		.amdhsa_exception_fp_ieee_div_zero 0
		.amdhsa_exception_fp_ieee_overflow 0
		.amdhsa_exception_fp_ieee_underflow 0
		.amdhsa_exception_fp_ieee_inexact 0
		.amdhsa_exception_int_div_zero 0
	.end_amdhsa_kernel
	.section	.text._ZN4vllm21deepseek_v4_fused_ops47fusedDeepseekV4QNormRopeKVRopeQuantInsertKernelIN3c108BFloat16ELi8EEEvPKT_PS4_S6_PhPKlSA_PKffiiiii,"axG",@progbits,_ZN4vllm21deepseek_v4_fused_ops47fusedDeepseekV4QNormRopeKVRopeQuantInsertKernelIN3c108BFloat16ELi8EEEvPKT_PS4_S6_PhPKlSA_PKffiiiii,comdat
.Lfunc_end5:
	.size	_ZN4vllm21deepseek_v4_fused_ops47fusedDeepseekV4QNormRopeKVRopeQuantInsertKernelIN3c108BFloat16ELi8EEEvPKT_PS4_S6_PhPKlSA_PKffiiiii, .Lfunc_end5-_ZN4vllm21deepseek_v4_fused_ops47fusedDeepseekV4QNormRopeKVRopeQuantInsertKernelIN3c108BFloat16ELi8EEEvPKT_PS4_S6_PhPKlSA_PKffiiiii
                                        ; -- End function
	.section	.AMDGPU.csdata,"",@progbits
; Kernel info:
; codeLenInByte = 16800
; NumSgprs: 24
; NumVgprs: 53
; ScratchSize: 0
; MemoryBound: 1
; FloatMode: 240
; IeeeMode: 1
; LDSByteSize: 0 bytes/workgroup (compile time only)
; SGPRBlocks: 2
; VGPRBlocks: 6
; NumSGPRsForWavesPerEU: 24
; NumVGPRsForWavesPerEU: 53
; Occupancy: 16
; WaveLimiterHint : 1
; COMPUTE_PGM_RSRC2:SCRATCH_EN: 0
; COMPUTE_PGM_RSRC2:USER_SGPR: 15
; COMPUTE_PGM_RSRC2:TRAP_HANDLER: 0
; COMPUTE_PGM_RSRC2:TGID_X_EN: 1
; COMPUTE_PGM_RSRC2:TGID_Y_EN: 0
; COMPUTE_PGM_RSRC2:TGID_Z_EN: 0
; COMPUTE_PGM_RSRC2:TIDIG_COMP_CNT: 0
	.section	.text._ZN4vllm21deepseek_v4_fused_ops47fusedDeepseekV4QNormRopeKVRopeQuantInsertKernelIN3c108BFloat16ELi16EEEvPKT_PS4_S6_PhPKlSA_PKffiiiii,"axG",@progbits,_ZN4vllm21deepseek_v4_fused_ops47fusedDeepseekV4QNormRopeKVRopeQuantInsertKernelIN3c108BFloat16ELi16EEEvPKT_PS4_S6_PhPKlSA_PKffiiiii,comdat
	.protected	_ZN4vllm21deepseek_v4_fused_ops47fusedDeepseekV4QNormRopeKVRopeQuantInsertKernelIN3c108BFloat16ELi16EEEvPKT_PS4_S6_PhPKlSA_PKffiiiii ; -- Begin function _ZN4vllm21deepseek_v4_fused_ops47fusedDeepseekV4QNormRopeKVRopeQuantInsertKernelIN3c108BFloat16ELi16EEEvPKT_PS4_S6_PhPKlSA_PKffiiiii
	.globl	_ZN4vllm21deepseek_v4_fused_ops47fusedDeepseekV4QNormRopeKVRopeQuantInsertKernelIN3c108BFloat16ELi16EEEvPKT_PS4_S6_PhPKlSA_PKffiiiii
	.p2align	8
	.type	_ZN4vllm21deepseek_v4_fused_ops47fusedDeepseekV4QNormRopeKVRopeQuantInsertKernelIN3c108BFloat16ELi16EEEvPKT_PS4_S6_PhPKlSA_PKffiiiii,@function
_ZN4vllm21deepseek_v4_fused_ops47fusedDeepseekV4QNormRopeKVRopeQuantInsertKernelIN3c108BFloat16ELi16EEEvPKT_PS4_S6_PhPKlSA_PKffiiiii: ; @_ZN4vllm21deepseek_v4_fused_ops47fusedDeepseekV4QNormRopeKVRopeQuantInsertKernelIN3c108BFloat16ELi16EEEvPKT_PS4_S6_PhPKlSA_PKffiiiii
; %bb.0:
	s_clause 0x1
	s_load_b32 s2, s[0:1], 0x5c
	s_load_b128 s[8:11], s[0:1], 0x38
	v_lshrrev_b32_e32 v3, 5, v0
	s_waitcnt lgkmcnt(0)
	s_bfe_u32 s2, s2, 0xb0005
	s_delay_alu instid0(VALU_DEP_1) | instid1(SALU_CYCLE_1)
	v_mad_u64_u32 v[1:2], null, s15, s2, v[3:4]
	s_mov_b32 s2, exec_lo
	s_delay_alu instid0(VALU_DEP_1) | instskip(NEXT) | instid1(VALU_DEP_1)
	v_mul_hi_i32 v2, 0x78787879, v1
	v_lshrrev_b32_e32 v3, 31, v2
	v_ashrrev_i32_e32 v2, 3, v2
	s_delay_alu instid0(VALU_DEP_1) | instskip(NEXT) | instid1(VALU_DEP_1)
	v_add_nc_u32_e32 v33, v2, v3
	v_cmpx_gt_i32_e64 s9, v33
	s_cbranch_execz .LBB6_449
; %bb.1:
	s_load_b64 s[14:15], s[0:1], 0x48
	v_lshl_add_u32 v2, v33, 4, v33
	v_cmp_gt_i32_e64 s3, s10, v33
	s_delay_alu instid0(VALU_DEP_2) | instskip(NEXT) | instid1(VALU_DEP_1)
	v_sub_nc_u32_e32 v35, v1, v2
	v_cmp_ne_u32_e64 s2, 16, v35
	v_cmp_eq_u32_e32 vcc_lo, 16, v35
	s_delay_alu instid0(VALU_DEP_2) | instskip(NEXT) | instid1(SALU_CYCLE_1)
	s_or_b32 s3, s2, s3
	s_and_b32 exec_lo, exec_lo, s3
	s_cbranch_execz .LBB6_449
; %bb.2:
	s_clause 0x2
	s_load_b64 s[12:13], s[0:1], 0x8
	s_load_b128 s[4:7], s[0:1], 0x20
	s_load_b64 s[16:17], s[0:1], 0x30
	v_and_b32_e32 v38, 31, v0
	v_cmp_gt_i32_e64 s3, s11, v35
	v_ashrrev_i32_e32 v34, 31, v33
	s_xor_b32 s9, s2, -1
                                        ; implicit-def: $vgpr8
                                        ; implicit-def: $vgpr16
	s_delay_alu instid0(VALU_DEP_3) | instskip(NEXT) | instid1(VALU_DEP_3)
	v_lshlrev_b32_e32 v37, 4, v38
	s_or_b32 s9, s9, s3
	s_delay_alu instid0(SALU_CYCLE_1)
	s_and_saveexec_b32 s10, s9
	s_cbranch_execz .LBB6_8
; %bb.3:
                                        ; implicit-def: $vgpr1_vgpr2
	s_and_saveexec_b32 s3, vcc_lo
	s_delay_alu instid0(SALU_CYCLE_1)
	s_xor_b32 s18, exec_lo, s3
	s_cbranch_execz .LBB6_5
; %bb.4:
	s_load_b64 s[20:21], s[0:1], 0x10
	v_lshlrev_b64 v[1:2], 10, v[33:34]
	v_lshlrev_b32_e32 v3, 1, v37
	s_waitcnt lgkmcnt(0)
	s_delay_alu instid0(VALU_DEP_2) | instskip(NEXT) | instid1(VALU_DEP_1)
	v_add_co_u32 v1, s3, s20, v1
	v_add_co_ci_u32_e64 v2, s3, s21, v2, s3
	s_delay_alu instid0(VALU_DEP_2) | instskip(NEXT) | instid1(VALU_DEP_1)
	v_add_co_u32 v1, s3, v1, v3
	v_add_co_ci_u32_e64 v2, s3, 0, v2, s3
.LBB6_5:
	s_and_not1_saveexec_b32 s18, s18
	s_cbranch_execz .LBB6_7
; %bb.6:
	v_ashrrev_i32_e32 v36, 31, v35
	s_load_b64 s[20:21], s[0:1], 0x0
	s_delay_alu instid0(VALU_DEP_1) | instskip(NEXT) | instid1(VALU_DEP_1)
	v_mad_i64_i32 v[1:2], null, v33, s11, v[35:36]
	v_lshlrev_b64 v[1:2], 10, v[1:2]
	s_delay_alu instid0(VALU_DEP_1) | instskip(SKIP_1) | instid1(VALU_DEP_1)
	v_lshl_or_b32 v1, v37, 1, v1
	s_waitcnt lgkmcnt(0)
	v_add_co_u32 v1, s3, s20, v1
	s_delay_alu instid0(VALU_DEP_1)
	v_add_co_ci_u32_e64 v2, s3, s21, v2, s3
.LBB6_7:
	s_or_b32 exec_lo, exec_lo, s18
	s_clause 0x1
	global_load_b128 v[5:8], v[1:2], off
	global_load_b128 v[13:16], v[1:2], off offset:16
.LBB6_8:
	s_or_b32 exec_lo, exec_lo, s10
	s_load_b64 s[10:11], s[0:1], 0x18
	s_and_saveexec_b32 s0, s9
	s_delay_alu instid0(SALU_CYCLE_1)
	s_xor_b32 s9, exec_lo, s0
	s_cbranch_execz .LBB6_447
; %bb.9:
	s_waitcnt vmcnt(1)
	v_lshlrev_b32_e32 v1, 16, v5
	v_and_b32_e32 v2, 0xffff0000, v5
	v_lshlrev_b32_e32 v3, 16, v6
	v_and_b32_e32 v4, 0xffff0000, v6
	;; [unrolled: 2-line block ×4, first 2 shown]
	s_waitcnt vmcnt(0)
	v_lshlrev_b32_e32 v9, 16, v13
	v_and_b32_e32 v10, 0xffff0000, v13
	v_lshlrev_b32_e32 v11, 16, v14
	v_and_b32_e32 v12, 0xffff0000, v14
	;; [unrolled: 2-line block ×4, first 2 shown]
	s_and_saveexec_b32 s1, s2
	s_cbranch_execz .LBB6_11
; %bb.10:
	v_mbcnt_lo_u32_b32 v18, -1, 0
	s_delay_alu instid0(VALU_DEP_1) | instskip(SKIP_1) | instid1(VALU_DEP_2)
	v_xor_b32_e32 v19, 16, v18
	v_xor_b32_e32 v20, 8, v18
	v_cmp_gt_i32_e64 s0, 32, v19
	s_delay_alu instid0(VALU_DEP_1) | instskip(NEXT) | instid1(VALU_DEP_3)
	v_cndmask_b32_e64 v19, v18, v19, s0
	v_cmp_gt_i32_e64 s0, 32, v20
	s_delay_alu instid0(VALU_DEP_2) | instskip(NEXT) | instid1(VALU_DEP_2)
	v_lshlrev_b32_e32 v19, 2, v19
	v_cndmask_b32_e64 v20, v18, v20, s0
	s_delay_alu instid0(VALU_DEP_1) | instskip(NEXT) | instid1(VALU_DEP_1)
	v_dual_mul_f32 v17, v2, v2 :: v_dual_lshlrev_b32 v20, 2, v20
	v_fmac_f32_e32 v17, v1, v1
	s_delay_alu instid0(VALU_DEP_1) | instskip(NEXT) | instid1(VALU_DEP_1)
	v_fmac_f32_e32 v17, v3, v3
	v_fmac_f32_e32 v17, v4, v4
	s_delay_alu instid0(VALU_DEP_1) | instskip(NEXT) | instid1(VALU_DEP_1)
	v_fmac_f32_e32 v17, v5, v5
	;; [unrolled: 3-line block ×7, first 2 shown]
	v_fmac_f32_e32 v17, v16, v16
	ds_bpermute_b32 v19, v19, v17
	s_waitcnt lgkmcnt(0)
	v_add_f32_e32 v17, v17, v19
	ds_bpermute_b32 v19, v20, v17
	v_xor_b32_e32 v20, 4, v18
	s_delay_alu instid0(VALU_DEP_1) | instskip(NEXT) | instid1(VALU_DEP_1)
	v_cmp_gt_i32_e64 s0, 32, v20
	v_cndmask_b32_e64 v20, v18, v20, s0
	s_waitcnt lgkmcnt(0)
	s_delay_alu instid0(VALU_DEP_1) | instskip(SKIP_2) | instid1(VALU_DEP_1)
	v_dual_add_f32 v17, v17, v19 :: v_dual_lshlrev_b32 v20, 2, v20
	ds_bpermute_b32 v19, v20, v17
	v_xor_b32_e32 v20, 2, v18
	v_cmp_gt_i32_e64 s0, 32, v20
	s_delay_alu instid0(VALU_DEP_1) | instskip(SKIP_1) | instid1(VALU_DEP_1)
	v_cndmask_b32_e64 v20, v18, v20, s0
	s_waitcnt lgkmcnt(0)
	v_dual_add_f32 v17, v17, v19 :: v_dual_lshlrev_b32 v20, 2, v20
	ds_bpermute_b32 v19, v20, v17
	v_xor_b32_e32 v20, 1, v18
	s_delay_alu instid0(VALU_DEP_1) | instskip(NEXT) | instid1(VALU_DEP_1)
	v_cmp_gt_i32_e64 s0, 32, v20
	v_cndmask_b32_e64 v18, v18, v20, s0
	s_waitcnt lgkmcnt(0)
	s_delay_alu instid0(VALU_DEP_1) | instskip(SKIP_4) | instid1(VALU_DEP_1)
	v_dual_add_f32 v17, v17, v19 :: v_dual_lshlrev_b32 v18, 2, v18
	v_mov_b32_e32 v19, s8
	ds_bpermute_b32 v18, v18, v17
	s_waitcnt lgkmcnt(0)
	v_add_f32_e32 v17, v17, v18
	v_fmamk_f32 v17, v17, 0x3b000000, v19
	s_delay_alu instid0(VALU_DEP_1) | instskip(SKIP_1) | instid1(VALU_DEP_1)
	v_mul_f32_e32 v18, 0x4b800000, v17
	v_cmp_gt_f32_e64 s0, 0x800000, v17
	v_cndmask_b32_e64 v17, v17, v18, s0
	s_delay_alu instid0(VALU_DEP_1) | instskip(SKIP_2) | instid1(VALU_DEP_1)
	v_rsq_f32_e32 v17, v17
	s_waitcnt_depctr 0xfff
	v_mul_f32_e32 v18, 0x45800000, v17
	v_cndmask_b32_e64 v17, v17, v18, s0
	s_delay_alu instid0(VALU_DEP_1)
	v_mul_f32_e32 v1, v17, v1
	v_mul_f32_e32 v2, v17, v2
	v_mul_f32_e32 v3, v17, v3
	v_mul_f32_e32 v4, v17, v4
	v_mul_f32_e32 v5, v17, v5
	v_mul_f32_e32 v6, v17, v6
	v_mul_f32_e32 v7, v17, v7
	v_mul_f32_e32 v8, v17, v8
	v_mul_f32_e32 v9, v17, v9
	v_mul_f32_e32 v10, v17, v10
	v_mul_f32_e32 v11, v17, v11
	v_mul_f32_e32 v12, v17, v12
	v_mul_f32_e32 v13, v17, v13
	v_mul_f32_e32 v14, v17, v14
	v_mul_f32_e32 v15, v17, v15
	v_mul_f32_e32 v16, v17, v16
.LBB6_11:
	s_or_b32 exec_lo, exec_lo, s1
	v_cmp_gt_u32_e64 s0, 28, v38
	s_mov_b32 s2, exec_lo
	v_cmpx_lt_u32_e32 27, v38
	s_cbranch_execz .LBB6_14
; %bb.12:
	v_lshlrev_b64 v[17:18], 3, v[33:34]
	v_dual_mov_b32 v20, 0 :: v_dual_add_nc_u32 v19, 0xfffffe40, v37
	s_delay_alu instid0(VALU_DEP_1) | instskip(SKIP_1) | instid1(VALU_DEP_3)
	v_lshrrev_b32_e32 v19, 1, v19
	s_waitcnt lgkmcnt(0)
	v_add_co_u32 v17, s1, s6, v17
	s_delay_alu instid0(VALU_DEP_1) | instskip(NEXT) | instid1(VALU_DEP_3)
	v_add_co_ci_u32_e64 v18, s1, s7, v18, s1
	v_lshlrev_b64 v[19:20], 2, v[19:20]
	global_load_b64 v[17:18], v[17:18], off
	s_waitcnt vmcnt(0)
	v_lshlrev_b64 v[17:18], 8, v[17:18]
	s_delay_alu instid0(VALU_DEP_1) | instskip(NEXT) | instid1(VALU_DEP_1)
	v_add_co_u32 v17, s1, s16, v17
	v_add_co_ci_u32_e64 v18, s1, s17, v18, s1
	s_delay_alu instid0(VALU_DEP_2) | instskip(NEXT) | instid1(VALU_DEP_1)
	v_add_co_u32 v17, s1, v17, v19
	v_add_co_ci_u32_e64 v18, s1, v18, v20, s1
	s_clause 0x3
	global_load_b128 v[20:23], v[17:18], off offset:128
	global_load_b128 v[28:31], v[17:18], off offset:144
	global_load_b128 v[39:42], v[17:18], off
	global_load_b128 v[43:46], v[17:18], off offset:16
	s_waitcnt vmcnt(3)
	v_mul_f32_e32 v17, v2, v20
	v_dual_mul_f32 v18, v1, v20 :: v_dual_mul_f32 v19, v4, v21
	v_dual_mul_f32 v20, v3, v21 :: v_dual_mul_f32 v21, v6, v22
	v_mul_f32_e32 v24, v7, v23
	v_dual_mul_f32 v22, v5, v22 :: v_dual_mul_f32 v25, v8, v23
	s_waitcnt vmcnt(2)
	v_dual_mul_f32 v27, v10, v28 :: v_dual_mul_f32 v36, v12, v29
	v_mul_f32_e32 v26, v9, v28
	v_dual_mul_f32 v28, v11, v29 :: v_dual_mul_f32 v47, v16, v31
	v_mul_f32_e32 v29, v14, v30
	v_mul_f32_e32 v30, v13, v30
	;; [unrolled: 1-line block ×3, first 2 shown]
	s_waitcnt vmcnt(1)
	v_fma_f32 v17, v1, v39, -v17
	v_fmac_f32_e32 v18, v2, v39
	v_fma_f32 v19, v3, v40, -v19
	v_fmac_f32_e32 v20, v4, v40
	;; [unrolled: 2-line block ×4, first 2 shown]
	s_waitcnt vmcnt(0)
	v_fma_f32 v25, v9, v43, -v27
	v_fmac_f32_e32 v26, v10, v43
	v_fma_f32 v27, v11, v44, -v36
	v_fmac_f32_e32 v28, v12, v44
	;; [unrolled: 2-line block ×4, first 2 shown]
	v_dual_mov_b32 v1, v17 :: v_dual_mov_b32 v2, v18
	v_dual_mov_b32 v3, v19 :: v_dual_mov_b32 v4, v20
	v_dual_mov_b32 v5, v21 :: v_dual_mov_b32 v6, v22
	v_dual_mov_b32 v7, v23 :: v_dual_mov_b32 v8, v24
	v_dual_mov_b32 v9, v25 :: v_dual_mov_b32 v10, v26
	v_dual_mov_b32 v11, v27 :: v_dual_mov_b32 v12, v28
	v_dual_mov_b32 v13, v29 :: v_dual_mov_b32 v14, v30
	v_dual_mov_b32 v15, v31 :: v_dual_mov_b32 v16, v32
	s_or_b32 exec_lo, exec_lo, s2
	s_and_saveexec_b32 s1, vcc_lo
	s_delay_alu instid0(SALU_CYCLE_1)
	s_xor_b32 s6, exec_lo, s1
	s_cbranch_execnz .LBB6_15
.LBB6_13:
	s_and_not1_saveexec_b32 s0, s6
	s_cbranch_execnz .LBB6_381
	s_branch .LBB6_446
.LBB6_14:
	s_or_b32 exec_lo, exec_lo, s2
	s_and_saveexec_b32 s1, vcc_lo
	s_waitcnt lgkmcnt(0)
	s_xor_b32 s6, exec_lo, s1
	s_cbranch_execz .LBB6_13
.LBB6_15:
	v_lshlrev_b64 v[17:18], 3, v[33:34]
	s_mov_b32 s7, exec_lo
	s_delay_alu instid0(VALU_DEP_1) | instskip(NEXT) | instid1(VALU_DEP_2)
	v_add_co_u32 v17, vcc_lo, s4, v17
	v_add_co_ci_u32_e32 v18, vcc_lo, s5, v18, vcc_lo
	global_load_b64 v[17:18], v[17:18], off
	s_waitcnt vmcnt(0)
	v_cmpx_lt_i64_e32 -1, v[17:18]
                                        ; implicit-def: $vgpr34
	s_cbranch_execz .LBB6_380
; %bb.16:
	s_ashr_i32 s16, s14, 31
	v_mov_b32_e32 v19, 0
	v_or_b32_e32 v20, s16, v18
	s_mov_b32 s8, s14
	s_delay_alu instid0(VALU_DEP_1) | instskip(SKIP_1) | instid1(SALU_CYCLE_1)
	v_cmp_ne_u64_e32 vcc_lo, 0, v[19:20]
                                        ; implicit-def: $vgpr19_vgpr20
	s_and_saveexec_b32 s1, vcc_lo
	s_xor_b32 s14, exec_lo, s1
	s_cbranch_execz .LBB6_18
; %bb.17:
	s_add_u32 s4, s8, s16
	s_mov_b32 s2, s16
	s_mov_b32 s3, s16
	s_addc_u32 s5, s16, s16
	s_delay_alu instid0(SALU_CYCLE_1) | instskip(NEXT) | instid1(SALU_CYCLE_1)
	s_xor_b64 s[4:5], s[4:5], s[2:3]
	v_cvt_f32_u32_e32 v19, s4
	v_cvt_f32_u32_e32 v20, s5
	s_sub_u32 s1, 0, s4
	s_subb_u32 s17, 0, s5
	s_delay_alu instid0(VALU_DEP_1) | instskip(NEXT) | instid1(VALU_DEP_1)
	v_fmamk_f32 v19, v20, 0x4f800000, v19
	v_rcp_f32_e32 v19, v19
	s_waitcnt_depctr 0xfff
	v_mul_f32_e32 v19, 0x5f7ffffc, v19
	s_delay_alu instid0(VALU_DEP_1) | instskip(NEXT) | instid1(VALU_DEP_1)
	v_mul_f32_e32 v20, 0x2f800000, v19
	v_trunc_f32_e32 v20, v20
	s_delay_alu instid0(VALU_DEP_1) | instskip(SKIP_1) | instid1(VALU_DEP_2)
	v_fmamk_f32 v19, v20, 0xcf800000, v19
	v_cvt_u32_f32_e32 v20, v20
	v_cvt_u32_f32_e32 v19, v19
	s_delay_alu instid0(VALU_DEP_2) | instskip(NEXT) | instid1(VALU_DEP_2)
	v_mul_lo_u32 v21, s1, v20
	v_mul_hi_u32 v22, s1, v19
	v_mul_lo_u32 v23, s17, v19
	s_delay_alu instid0(VALU_DEP_2) | instskip(SKIP_1) | instid1(VALU_DEP_2)
	v_add_nc_u32_e32 v21, v22, v21
	v_mul_lo_u32 v22, s1, v19
	v_add_nc_u32_e32 v21, v21, v23
	s_delay_alu instid0(VALU_DEP_2) | instskip(NEXT) | instid1(VALU_DEP_2)
	v_mul_hi_u32 v23, v19, v22
	v_mul_lo_u32 v24, v19, v21
	v_mul_hi_u32 v25, v19, v21
	v_mul_hi_u32 v26, v20, v22
	v_mul_lo_u32 v22, v20, v22
	v_mul_hi_u32 v27, v20, v21
	v_mul_lo_u32 v21, v20, v21
	v_add_co_u32 v23, vcc_lo, v23, v24
	v_add_co_ci_u32_e32 v24, vcc_lo, 0, v25, vcc_lo
	s_delay_alu instid0(VALU_DEP_2) | instskip(NEXT) | instid1(VALU_DEP_2)
	v_add_co_u32 v22, vcc_lo, v23, v22
	v_add_co_ci_u32_e32 v22, vcc_lo, v24, v26, vcc_lo
	v_add_co_ci_u32_e32 v23, vcc_lo, 0, v27, vcc_lo
	v_ashrrev_i32_e32 v26, 31, v18
	s_delay_alu instid0(VALU_DEP_3) | instskip(NEXT) | instid1(VALU_DEP_3)
	v_add_co_u32 v21, vcc_lo, v22, v21
	v_add_co_ci_u32_e32 v22, vcc_lo, 0, v23, vcc_lo
	s_delay_alu instid0(VALU_DEP_2) | instskip(NEXT) | instid1(VALU_DEP_2)
	v_add_co_u32 v19, vcc_lo, v19, v21
	v_add_co_ci_u32_e32 v20, vcc_lo, v20, v22, vcc_lo
	s_delay_alu instid0(VALU_DEP_2) | instskip(SKIP_1) | instid1(VALU_DEP_3)
	v_mul_hi_u32 v21, s1, v19
	v_mul_lo_u32 v23, s17, v19
	v_mul_lo_u32 v22, s1, v20
	s_delay_alu instid0(VALU_DEP_1) | instskip(SKIP_1) | instid1(VALU_DEP_2)
	v_add_nc_u32_e32 v21, v21, v22
	v_mul_lo_u32 v22, s1, v19
	v_add_nc_u32_e32 v21, v21, v23
	s_delay_alu instid0(VALU_DEP_2) | instskip(NEXT) | instid1(VALU_DEP_2)
	v_mul_hi_u32 v23, v19, v22
	v_mul_lo_u32 v24, v19, v21
	v_mul_hi_u32 v25, v19, v21
	v_mul_hi_u32 v27, v20, v22
	v_mul_lo_u32 v22, v20, v22
	v_mul_hi_u32 v28, v20, v21
	v_mul_lo_u32 v21, v20, v21
	v_add_co_u32 v23, vcc_lo, v23, v24
	v_add_co_ci_u32_e32 v24, vcc_lo, 0, v25, vcc_lo
	s_delay_alu instid0(VALU_DEP_2) | instskip(NEXT) | instid1(VALU_DEP_2)
	v_add_co_u32 v22, vcc_lo, v23, v22
	v_add_co_ci_u32_e32 v22, vcc_lo, v24, v27, vcc_lo
	v_add_co_ci_u32_e32 v23, vcc_lo, 0, v28, vcc_lo
	v_add_co_u32 v24, vcc_lo, v17, v26
	v_add_co_ci_u32_e32 v25, vcc_lo, v18, v26, vcc_lo
	s_delay_alu instid0(VALU_DEP_4) | instskip(NEXT) | instid1(VALU_DEP_4)
	v_add_co_u32 v21, vcc_lo, v22, v21
	v_add_co_ci_u32_e32 v22, vcc_lo, 0, v23, vcc_lo
	s_delay_alu instid0(VALU_DEP_4) | instskip(NEXT) | instid1(VALU_DEP_3)
	v_xor_b32_e32 v27, v24, v26
	v_add_co_u32 v23, vcc_lo, v19, v21
	s_delay_alu instid0(VALU_DEP_3) | instskip(SKIP_1) | instid1(VALU_DEP_3)
	v_add_co_ci_u32_e32 v28, vcc_lo, v20, v22, vcc_lo
	v_xor_b32_e32 v25, v25, v26
	v_mul_hi_u32 v29, v27, v23
	s_delay_alu instid0(VALU_DEP_3) | instskip(NEXT) | instid1(VALU_DEP_3)
	v_mad_u64_u32 v[19:20], null, v27, v28, 0
	v_mad_u64_u32 v[21:22], null, v25, v23, 0
	v_mad_u64_u32 v[23:24], null, v25, v28, 0
	s_delay_alu instid0(VALU_DEP_3) | instskip(NEXT) | instid1(VALU_DEP_4)
	v_add_co_u32 v19, vcc_lo, v29, v19
	v_add_co_ci_u32_e32 v20, vcc_lo, 0, v20, vcc_lo
	s_delay_alu instid0(VALU_DEP_2) | instskip(NEXT) | instid1(VALU_DEP_2)
	v_add_co_u32 v19, vcc_lo, v19, v21
	v_add_co_ci_u32_e32 v19, vcc_lo, v20, v22, vcc_lo
	v_add_co_ci_u32_e32 v20, vcc_lo, 0, v24, vcc_lo
	s_delay_alu instid0(VALU_DEP_2) | instskip(NEXT) | instid1(VALU_DEP_2)
	v_add_co_u32 v21, vcc_lo, v19, v23
	v_add_co_ci_u32_e32 v22, vcc_lo, 0, v20, vcc_lo
	s_delay_alu instid0(VALU_DEP_2) | instskip(SKIP_1) | instid1(VALU_DEP_3)
	v_mul_lo_u32 v23, s5, v21
	v_mad_u64_u32 v[19:20], null, s4, v21, 0
	v_mul_lo_u32 v24, s4, v22
	s_delay_alu instid0(VALU_DEP_2) | instskip(NEXT) | instid1(VALU_DEP_2)
	v_sub_co_u32 v19, vcc_lo, v27, v19
	v_add3_u32 v20, v20, v24, v23
	s_delay_alu instid0(VALU_DEP_1) | instskip(NEXT) | instid1(VALU_DEP_1)
	v_sub_nc_u32_e32 v23, v25, v20
	v_subrev_co_ci_u32_e64 v23, s1, s5, v23, vcc_lo
	v_add_co_u32 v24, s1, v21, 2
	s_delay_alu instid0(VALU_DEP_1) | instskip(SKIP_3) | instid1(VALU_DEP_3)
	v_add_co_ci_u32_e64 v27, s1, 0, v22, s1
	v_sub_co_u32 v28, s1, v19, s4
	v_sub_co_ci_u32_e32 v20, vcc_lo, v25, v20, vcc_lo
	v_subrev_co_ci_u32_e64 v23, s1, 0, v23, s1
	v_cmp_le_u32_e32 vcc_lo, s4, v28
	s_delay_alu instid0(VALU_DEP_3) | instskip(SKIP_1) | instid1(VALU_DEP_4)
	v_cmp_eq_u32_e64 s1, s5, v20
	v_cndmask_b32_e64 v25, 0, -1, vcc_lo
	v_cmp_le_u32_e32 vcc_lo, s5, v23
	v_cndmask_b32_e64 v28, 0, -1, vcc_lo
	v_cmp_le_u32_e32 vcc_lo, s4, v19
	;; [unrolled: 2-line block ×3, first 2 shown]
	v_cndmask_b32_e64 v29, 0, -1, vcc_lo
	v_cmp_eq_u32_e32 vcc_lo, s5, v23
	s_delay_alu instid0(VALU_DEP_2) | instskip(SKIP_3) | instid1(VALU_DEP_3)
	v_cndmask_b32_e64 v19, v29, v19, s1
	v_cndmask_b32_e32 v23, v28, v25, vcc_lo
	v_add_co_u32 v25, vcc_lo, v21, 1
	v_add_co_ci_u32_e32 v28, vcc_lo, 0, v22, vcc_lo
	v_cmp_ne_u32_e32 vcc_lo, 0, v23
	s_delay_alu instid0(VALU_DEP_2) | instskip(SKIP_2) | instid1(VALU_DEP_3)
	v_dual_cndmask_b32 v20, v28, v27 :: v_dual_cndmask_b32 v23, v25, v24
	v_cmp_ne_u32_e32 vcc_lo, 0, v19
	v_xor_b32_e32 v19, s2, v26
	v_dual_cndmask_b32 v21, v21, v23 :: v_dual_cndmask_b32 v20, v22, v20
	v_xor_b32_e32 v22, s3, v26
	s_delay_alu instid0(VALU_DEP_2) | instskip(NEXT) | instid1(VALU_DEP_2)
	v_xor_b32_e32 v21, v21, v19
	v_xor_b32_e32 v20, v20, v22
	s_delay_alu instid0(VALU_DEP_2) | instskip(NEXT) | instid1(VALU_DEP_2)
	v_sub_co_u32 v19, vcc_lo, v21, v19
	v_sub_co_ci_u32_e32 v20, vcc_lo, v20, v22, vcc_lo
.LBB6_18:
	s_and_not1_saveexec_b32 s1, s14
	s_cbranch_execz .LBB6_20
; %bb.19:
	v_cvt_f32_u32_e32 v19, s8
	s_sub_i32 s2, 0, s8
	s_delay_alu instid0(VALU_DEP_1) | instskip(SKIP_2) | instid1(VALU_DEP_1)
	v_rcp_iflag_f32_e32 v19, v19
	s_waitcnt_depctr 0xfff
	v_mul_f32_e32 v19, 0x4f7ffffe, v19
	v_cvt_u32_f32_e32 v19, v19
	s_delay_alu instid0(VALU_DEP_1) | instskip(NEXT) | instid1(VALU_DEP_1)
	v_mul_lo_u32 v20, s2, v19
	v_mul_hi_u32 v20, v19, v20
	s_delay_alu instid0(VALU_DEP_1) | instskip(NEXT) | instid1(VALU_DEP_1)
	v_add_nc_u32_e32 v19, v19, v20
	v_mul_hi_u32 v19, v17, v19
	s_delay_alu instid0(VALU_DEP_1) | instskip(SKIP_1) | instid1(VALU_DEP_2)
	v_mul_lo_u32 v20, v19, s8
	v_add_nc_u32_e32 v21, 1, v19
	v_sub_nc_u32_e32 v20, v17, v20
	s_delay_alu instid0(VALU_DEP_1) | instskip(SKIP_1) | instid1(VALU_DEP_2)
	v_subrev_nc_u32_e32 v22, s8, v20
	v_cmp_le_u32_e32 vcc_lo, s8, v20
	v_dual_cndmask_b32 v20, v20, v22 :: v_dual_cndmask_b32 v19, v19, v21
	s_delay_alu instid0(VALU_DEP_1) | instskip(NEXT) | instid1(VALU_DEP_2)
	v_cmp_le_u32_e32 vcc_lo, s8, v20
	v_dual_mov_b32 v20, 0 :: v_dual_add_nc_u32 v21, 1, v19
	s_delay_alu instid0(VALU_DEP_1)
	v_cndmask_b32_e32 v19, v19, v21, vcc_lo
.LBB6_20:
	s_or_b32 exec_lo, exec_lo, s1
	v_and_b32_e32 v21, 0x7f800000, v1
	s_mov_b32 s1, exec_lo
                                        ; implicit-def: $vgpr34
	s_delay_alu instid0(VALU_DEP_1)
	v_cmpx_ne_u32_e32 0x7f800000, v21
	s_xor_b32 s1, exec_lo, s1
; %bb.21:
	v_bfe_u32 v21, v1, 16, 1
	s_delay_alu instid0(VALU_DEP_1)
	v_add3_u32 v34, v1, v21, 0x7fff
; %bb.22:
	s_and_not1_saveexec_b32 s1, s1
; %bb.23:
	v_and_b32_e32 v21, 0xffff, v1
	v_or_b32_e32 v22, 0x10000, v1
	s_delay_alu instid0(VALU_DEP_2) | instskip(NEXT) | instid1(VALU_DEP_2)
	v_cmp_eq_u32_e32 vcc_lo, 0, v21
	v_cndmask_b32_e32 v34, v22, v1, vcc_lo
; %bb.24:
	s_or_b32 exec_lo, exec_lo, s1
	v_and_b32_e32 v1, 0x7f800000, v2
	s_delay_alu instid0(VALU_DEP_2) | instskip(SKIP_1) | instid1(VALU_DEP_2)
	v_and_b32_e32 v36, 0xffff0000, v34
	s_mov_b32 s1, exec_lo
                                        ; implicit-def: $vgpr35
	v_cmpx_ne_u32_e32 0x7f800000, v1
	s_xor_b32 s1, exec_lo, s1
; %bb.25:
	v_bfe_u32 v1, v2, 16, 1
	s_delay_alu instid0(VALU_DEP_1)
	v_add3_u32 v35, v2, v1, 0x7fff
; %bb.26:
	s_and_not1_saveexec_b32 s1, s1
; %bb.27:
	v_and_b32_e32 v1, 0xffff, v2
	v_or_b32_e32 v21, 0x10000, v2
	s_delay_alu instid0(VALU_DEP_2) | instskip(NEXT) | instid1(VALU_DEP_2)
	v_cmp_eq_u32_e32 vcc_lo, 0, v1
	v_cndmask_b32_e32 v35, v21, v2, vcc_lo
; %bb.28:
	s_or_b32 exec_lo, exec_lo, s1
	v_and_b32_e32 v1, 0x7f800000, v3
	s_delay_alu instid0(VALU_DEP_2) | instskip(SKIP_1) | instid1(VALU_DEP_2)
	v_and_b32_e32 v33, 0xffff0000, v35
	s_mov_b32 s1, exec_lo
                                        ; implicit-def: $vgpr39
	v_cmpx_ne_u32_e32 0x7f800000, v1
	s_xor_b32 s1, exec_lo, s1
; %bb.29:
	v_bfe_u32 v1, v3, 16, 1
	s_delay_alu instid0(VALU_DEP_1)
	v_add3_u32 v39, v3, v1, 0x7fff
; %bb.30:
	s_and_not1_saveexec_b32 s1, s1
; %bb.31:
	v_and_b32_e32 v1, 0xffff, v3
	v_or_b32_e32 v2, 0x10000, v3
	s_delay_alu instid0(VALU_DEP_2) | instskip(NEXT) | instid1(VALU_DEP_2)
	v_cmp_eq_u32_e32 vcc_lo, 0, v1
	v_cndmask_b32_e32 v39, v2, v3, vcc_lo
; %bb.32:
	s_or_b32 exec_lo, exec_lo, s1
	v_and_b32_e32 v1, 0x7f800000, v4
	s_delay_alu instid0(VALU_DEP_2) | instskip(SKIP_1) | instid1(VALU_DEP_2)
	v_and_b32_e32 v32, 0xffff0000, v39
	s_mov_b32 s1, exec_lo
                                        ; implicit-def: $vgpr40
	v_cmpx_ne_u32_e32 0x7f800000, v1
	s_xor_b32 s1, exec_lo, s1
; %bb.33:
	v_bfe_u32 v1, v4, 16, 1
	s_delay_alu instid0(VALU_DEP_1)
	v_add3_u32 v40, v4, v1, 0x7fff
; %bb.34:
	s_and_not1_saveexec_b32 s1, s1
; %bb.35:
	v_and_b32_e32 v1, 0xffff, v4
	v_or_b32_e32 v2, 0x10000, v4
	s_delay_alu instid0(VALU_DEP_2) | instskip(NEXT) | instid1(VALU_DEP_2)
	v_cmp_eq_u32_e32 vcc_lo, 0, v1
	v_cndmask_b32_e32 v40, v2, v4, vcc_lo
; %bb.36:
	s_or_b32 exec_lo, exec_lo, s1
	v_and_b32_e32 v1, 0x7f800000, v5
	s_delay_alu instid0(VALU_DEP_2) | instskip(SKIP_1) | instid1(VALU_DEP_2)
	v_and_b32_e32 v31, 0xffff0000, v40
	s_mov_b32 s1, exec_lo
                                        ; implicit-def: $vgpr41
	v_cmpx_ne_u32_e32 0x7f800000, v1
	s_xor_b32 s1, exec_lo, s1
; %bb.37:
	v_bfe_u32 v1, v5, 16, 1
	s_delay_alu instid0(VALU_DEP_1)
	v_add3_u32 v41, v5, v1, 0x7fff
; %bb.38:
	s_and_not1_saveexec_b32 s1, s1
; %bb.39:
	v_and_b32_e32 v1, 0xffff, v5
	v_or_b32_e32 v2, 0x10000, v5
	s_delay_alu instid0(VALU_DEP_2) | instskip(NEXT) | instid1(VALU_DEP_2)
	v_cmp_eq_u32_e32 vcc_lo, 0, v1
	v_cndmask_b32_e32 v41, v2, v5, vcc_lo
; %bb.40:
	s_or_b32 exec_lo, exec_lo, s1
	v_and_b32_e32 v1, 0x7f800000, v6
	s_delay_alu instid0(VALU_DEP_2) | instskip(SKIP_1) | instid1(VALU_DEP_2)
	v_and_b32_e32 v30, 0xffff0000, v41
	s_mov_b32 s1, exec_lo
                                        ; implicit-def: $vgpr42
	v_cmpx_ne_u32_e32 0x7f800000, v1
	s_xor_b32 s1, exec_lo, s1
; %bb.41:
	v_bfe_u32 v1, v6, 16, 1
	s_delay_alu instid0(VALU_DEP_1)
	v_add3_u32 v42, v6, v1, 0x7fff
; %bb.42:
	s_and_not1_saveexec_b32 s1, s1
; %bb.43:
	v_and_b32_e32 v1, 0xffff, v6
	v_or_b32_e32 v2, 0x10000, v6
	s_delay_alu instid0(VALU_DEP_2) | instskip(NEXT) | instid1(VALU_DEP_2)
	v_cmp_eq_u32_e32 vcc_lo, 0, v1
	v_cndmask_b32_e32 v42, v2, v6, vcc_lo
; %bb.44:
	s_or_b32 exec_lo, exec_lo, s1
	v_and_b32_e32 v1, 0x7f800000, v7
	s_delay_alu instid0(VALU_DEP_2) | instskip(SKIP_1) | instid1(VALU_DEP_2)
	v_and_b32_e32 v29, 0xffff0000, v42
	s_mov_b32 s1, exec_lo
                                        ; implicit-def: $vgpr43
	v_cmpx_ne_u32_e32 0x7f800000, v1
	s_xor_b32 s1, exec_lo, s1
; %bb.45:
	v_bfe_u32 v1, v7, 16, 1
	s_delay_alu instid0(VALU_DEP_1)
	v_add3_u32 v43, v7, v1, 0x7fff
; %bb.46:
	s_and_not1_saveexec_b32 s1, s1
; %bb.47:
	v_and_b32_e32 v1, 0xffff, v7
	v_or_b32_e32 v2, 0x10000, v7
	s_delay_alu instid0(VALU_DEP_2) | instskip(NEXT) | instid1(VALU_DEP_2)
	v_cmp_eq_u32_e32 vcc_lo, 0, v1
	v_cndmask_b32_e32 v43, v2, v7, vcc_lo
; %bb.48:
	s_or_b32 exec_lo, exec_lo, s1
	v_and_b32_e32 v1, 0x7f800000, v8
	s_delay_alu instid0(VALU_DEP_2) | instskip(SKIP_1) | instid1(VALU_DEP_2)
	v_and_b32_e32 v26, 0xffff0000, v43
	s_mov_b32 s1, exec_lo
                                        ; implicit-def: $vgpr44
	v_cmpx_ne_u32_e32 0x7f800000, v1
	s_xor_b32 s1, exec_lo, s1
; %bb.49:
	v_bfe_u32 v1, v8, 16, 1
	s_delay_alu instid0(VALU_DEP_1)
	v_add3_u32 v44, v8, v1, 0x7fff
; %bb.50:
	s_and_not1_saveexec_b32 s1, s1
; %bb.51:
	v_and_b32_e32 v1, 0xffff, v8
	v_or_b32_e32 v2, 0x10000, v8
	s_delay_alu instid0(VALU_DEP_2) | instskip(NEXT) | instid1(VALU_DEP_2)
	v_cmp_eq_u32_e32 vcc_lo, 0, v1
	v_cndmask_b32_e32 v44, v2, v8, vcc_lo
; %bb.52:
	s_or_b32 exec_lo, exec_lo, s1
	v_and_b32_e32 v1, 0x7f800000, v9
	s_delay_alu instid0(VALU_DEP_2) | instskip(SKIP_1) | instid1(VALU_DEP_2)
	v_and_b32_e32 v28, 0xffff0000, v44
	s_mov_b32 s1, exec_lo
                                        ; implicit-def: $vgpr45
	v_cmpx_ne_u32_e32 0x7f800000, v1
	s_xor_b32 s1, exec_lo, s1
; %bb.53:
	v_bfe_u32 v1, v9, 16, 1
	s_delay_alu instid0(VALU_DEP_1)
	v_add3_u32 v45, v9, v1, 0x7fff
; %bb.54:
	s_and_not1_saveexec_b32 s1, s1
; %bb.55:
	v_and_b32_e32 v1, 0xffff, v9
	v_or_b32_e32 v2, 0x10000, v9
	s_delay_alu instid0(VALU_DEP_2) | instskip(NEXT) | instid1(VALU_DEP_2)
	v_cmp_eq_u32_e32 vcc_lo, 0, v1
	v_cndmask_b32_e32 v45, v2, v9, vcc_lo
; %bb.56:
	s_or_b32 exec_lo, exec_lo, s1
	v_and_b32_e32 v1, 0x7f800000, v10
	s_delay_alu instid0(VALU_DEP_2) | instskip(SKIP_1) | instid1(VALU_DEP_2)
	v_and_b32_e32 v27, 0xffff0000, v45
	s_mov_b32 s1, exec_lo
                                        ; implicit-def: $vgpr46
	v_cmpx_ne_u32_e32 0x7f800000, v1
	s_xor_b32 s1, exec_lo, s1
; %bb.57:
	v_bfe_u32 v1, v10, 16, 1
	s_delay_alu instid0(VALU_DEP_1)
	v_add3_u32 v46, v10, v1, 0x7fff
; %bb.58:
	s_and_not1_saveexec_b32 s1, s1
; %bb.59:
	v_and_b32_e32 v1, 0xffff, v10
	v_or_b32_e32 v2, 0x10000, v10
	s_delay_alu instid0(VALU_DEP_2) | instskip(NEXT) | instid1(VALU_DEP_2)
	v_cmp_eq_u32_e32 vcc_lo, 0, v1
	v_cndmask_b32_e32 v46, v2, v10, vcc_lo
; %bb.60:
	s_or_b32 exec_lo, exec_lo, s1
	v_and_b32_e32 v1, 0x7f800000, v11
	s_delay_alu instid0(VALU_DEP_2) | instskip(SKIP_1) | instid1(VALU_DEP_2)
	v_and_b32_e32 v25, 0xffff0000, v46
	s_mov_b32 s1, exec_lo
                                        ; implicit-def: $vgpr47
	v_cmpx_ne_u32_e32 0x7f800000, v1
	s_xor_b32 s1, exec_lo, s1
; %bb.61:
	v_bfe_u32 v1, v11, 16, 1
	s_delay_alu instid0(VALU_DEP_1)
	v_add3_u32 v47, v11, v1, 0x7fff
; %bb.62:
	s_and_not1_saveexec_b32 s1, s1
; %bb.63:
	v_and_b32_e32 v1, 0xffff, v11
	v_or_b32_e32 v2, 0x10000, v11
	s_delay_alu instid0(VALU_DEP_2) | instskip(NEXT) | instid1(VALU_DEP_2)
	v_cmp_eq_u32_e32 vcc_lo, 0, v1
	v_cndmask_b32_e32 v47, v2, v11, vcc_lo
; %bb.64:
	s_or_b32 exec_lo, exec_lo, s1
	v_and_b32_e32 v1, 0x7f800000, v12
	s_delay_alu instid0(VALU_DEP_2) | instskip(SKIP_1) | instid1(VALU_DEP_2)
	v_and_b32_e32 v24, 0xffff0000, v47
	s_mov_b32 s1, exec_lo
                                        ; implicit-def: $vgpr48
	v_cmpx_ne_u32_e32 0x7f800000, v1
	s_xor_b32 s1, exec_lo, s1
; %bb.65:
	v_bfe_u32 v1, v12, 16, 1
	s_delay_alu instid0(VALU_DEP_1)
	v_add3_u32 v48, v12, v1, 0x7fff
; %bb.66:
	s_and_not1_saveexec_b32 s1, s1
; %bb.67:
	v_and_b32_e32 v1, 0xffff, v12
	v_or_b32_e32 v2, 0x10000, v12
	s_delay_alu instid0(VALU_DEP_2) | instskip(NEXT) | instid1(VALU_DEP_2)
	v_cmp_eq_u32_e32 vcc_lo, 0, v1
	v_cndmask_b32_e32 v48, v2, v12, vcc_lo
; %bb.68:
	s_or_b32 exec_lo, exec_lo, s1
	v_and_b32_e32 v1, 0x7f800000, v13
	s_delay_alu instid0(VALU_DEP_2) | instskip(SKIP_1) | instid1(VALU_DEP_2)
	v_and_b32_e32 v23, 0xffff0000, v48
	s_mov_b32 s1, exec_lo
                                        ; implicit-def: $vgpr49
	v_cmpx_ne_u32_e32 0x7f800000, v1
	s_xor_b32 s1, exec_lo, s1
; %bb.69:
	v_bfe_u32 v1, v13, 16, 1
	s_delay_alu instid0(VALU_DEP_1)
	v_add3_u32 v49, v13, v1, 0x7fff
; %bb.70:
	s_and_not1_saveexec_b32 s1, s1
; %bb.71:
	v_and_b32_e32 v1, 0xffff, v13
	v_or_b32_e32 v2, 0x10000, v13
	s_delay_alu instid0(VALU_DEP_2) | instskip(NEXT) | instid1(VALU_DEP_2)
	v_cmp_eq_u32_e32 vcc_lo, 0, v1
	v_cndmask_b32_e32 v49, v2, v13, vcc_lo
; %bb.72:
	s_or_b32 exec_lo, exec_lo, s1
	v_and_b32_e32 v1, 0x7f800000, v14
	s_mov_b32 s1, exec_lo
                                        ; implicit-def: $vgpr50
	s_delay_alu instid0(VALU_DEP_1)
	v_cmpx_ne_u32_e32 0x7f800000, v1
	s_xor_b32 s1, exec_lo, s1
; %bb.73:
	v_bfe_u32 v1, v14, 16, 1
	s_delay_alu instid0(VALU_DEP_1)
	v_add3_u32 v50, v14, v1, 0x7fff
; %bb.74:
	s_and_not1_saveexec_b32 s1, s1
; %bb.75:
	v_and_b32_e32 v1, 0xffff, v14
	v_or_b32_e32 v2, 0x10000, v14
	s_delay_alu instid0(VALU_DEP_2) | instskip(NEXT) | instid1(VALU_DEP_2)
	v_cmp_eq_u32_e32 vcc_lo, 0, v1
	v_cndmask_b32_e32 v50, v2, v14, vcc_lo
; %bb.76:
	s_or_b32 exec_lo, exec_lo, s1
	v_and_b32_e32 v1, 0x7f800000, v15
	s_mov_b32 s1, exec_lo
                                        ; implicit-def: $vgpr51
	s_delay_alu instid0(VALU_DEP_1)
	v_cmpx_ne_u32_e32 0x7f800000, v1
	s_xor_b32 s1, exec_lo, s1
; %bb.77:
	v_bfe_u32 v1, v15, 16, 1
	s_delay_alu instid0(VALU_DEP_1)
	v_add3_u32 v51, v15, v1, 0x7fff
; %bb.78:
	s_and_not1_saveexec_b32 s1, s1
; %bb.79:
	v_and_b32_e32 v1, 0xffff, v15
	v_or_b32_e32 v2, 0x10000, v15
	s_delay_alu instid0(VALU_DEP_2) | instskip(NEXT) | instid1(VALU_DEP_2)
	v_cmp_eq_u32_e32 vcc_lo, 0, v1
	v_cndmask_b32_e32 v51, v2, v15, vcc_lo
; %bb.80:
	s_or_b32 exec_lo, exec_lo, s1
	v_and_b32_e32 v1, 0x7f800000, v16
	s_mov_b32 s1, exec_lo
                                        ; implicit-def: $vgpr52
	s_delay_alu instid0(VALU_DEP_1)
	v_cmpx_ne_u32_e32 0x7f800000, v1
	s_xor_b32 s1, exec_lo, s1
; %bb.81:
	v_bfe_u32 v1, v16, 16, 1
	s_delay_alu instid0(VALU_DEP_1)
	v_add3_u32 v52, v16, v1, 0x7fff
                                        ; implicit-def: $vgpr1_vgpr2_vgpr3_vgpr4_vgpr5_vgpr6_vgpr7_vgpr8_vgpr9_vgpr10_vgpr11_vgpr12_vgpr13_vgpr14_vgpr15_vgpr16
; %bb.82:
	s_and_not1_saveexec_b32 s1, s1
; %bb.83:
	v_and_b32_e32 v1, 0xffff, v16
	v_or_b32_e32 v2, 0x10000, v16
	s_delay_alu instid0(VALU_DEP_2) | instskip(NEXT) | instid1(VALU_DEP_2)
	v_cmp_eq_u32_e32 vcc_lo, 0, v1
	v_cndmask_b32_e32 v52, v2, v16, vcc_lo
; %bb.84:
	s_or_b32 exec_lo, exec_lo, s1
	v_max3_f32 v1, |v36|, 0, |v33|
	v_mbcnt_lo_u32_b32 v5, -1, 0
	v_and_b32_e32 v22, 0xffff0000, v49
	v_and_b32_e32 v16, 0xffff0000, v51
	v_mul_lo_u32 v6, v20, s8
	v_max3_f32 v1, v1, |v32|, |v31|
	v_xor_b32_e32 v2, 1, v5
	v_xor_b32_e32 v12, 2, v5
	v_mul_lo_u32 v8, v19, s16
	s_ashr_i32 s1, s15, 31
	v_max3_f32 v1, v1, |v30|, |v29|
	v_cmp_gt_i32_e32 vcc_lo, 32, v2
	v_and_b32_e32 v13, 0xffff0000, v52
	v_mad_u64_u32 v[3:4], null, v19, s15, s[10:11]
	s_delay_alu instid0(VALU_DEP_4)
	v_max3_f32 v1, v1, |v26|, |v28|
	v_cndmask_b32_e32 v2, v5, v2, vcc_lo
	v_cmp_gt_i32_e32 vcc_lo, 32, v12
	v_and_b32_e32 v21, 0xffff0000, v50
	v_mul_lo_u32 v10, v20, s15
	v_max3_f32 v1, v1, |v27|, |v25|
	v_mul_lo_u32 v11, v19, s1
	s_delay_alu instid0(VALU_DEP_2) | instskip(NEXT) | instid1(VALU_DEP_2)
	v_max3_f32 v1, v1, |v24|, |v23|
	v_add3_u32 v4, v10, v4, v11
	s_delay_alu instid0(VALU_DEP_2) | instskip(NEXT) | instid1(VALU_DEP_1)
	v_max3_f32 v1, v1, |v22|, |v21|
	v_max3_f32 v7, v1, |v16|, |v13|
	v_lshlrev_b32_e32 v2, 2, v2
	ds_bpermute_b32 v9, v2, v7
	v_mad_u64_u32 v[1:2], null, v19, s8, 0
	s_delay_alu instid0(VALU_DEP_1) | instskip(SKIP_1) | instid1(VALU_DEP_3)
	v_add3_u32 v2, v2, v8, v6
	v_cndmask_b32_e32 v8, v5, v12, vcc_lo
	v_sub_co_u32 v5, vcc_lo, v17, v1
	s_delay_alu instid0(VALU_DEP_3) | instskip(NEXT) | instid1(VALU_DEP_3)
	v_sub_co_ci_u32_e32 v6, vcc_lo, v18, v2, vcc_lo
	v_lshlrev_b32_e32 v8, 2, v8
	s_delay_alu instid0(VALU_DEP_3) | instskip(SKIP_2) | instid1(VALU_DEP_1)
	v_mad_u64_u32 v[1:2], null, 0x240, v5, v[3:4]
	s_waitcnt lgkmcnt(0)
	v_max_f32_e32 v9, v9, v9
	v_max_f32_e32 v7, v7, v9
	s_delay_alu instid0(VALU_DEP_3) | instskip(SKIP_3) | instid1(SALU_CYCLE_1)
	v_mad_u64_u32 v[9:10], null, 0x240, v6, v[2:3]
	ds_bpermute_b32 v8, v8, v7
	v_mov_b32_e32 v2, v9
	s_and_saveexec_b32 s1, s0
	s_xor_b32 s1, exec_lo, s1
	s_cbranch_execz .LBB6_378
; %bb.85:
	s_waitcnt lgkmcnt(0)
	v_max3_f32 v7, v7, v8, 0x38d1b717
	s_mov_b32 s0, 0xc3e00000
	s_delay_alu instid0(VALU_DEP_1) | instskip(SKIP_1) | instid1(VALU_DEP_2)
	v_div_scale_f32 v8, null, 0x43e00000, 0x43e00000, v7
	v_div_scale_f32 v11, vcc_lo, v7, 0x43e00000, v7
	v_rcp_f32_e32 v9, v8
	s_waitcnt_depctr 0xfff
	v_fma_f32 v10, -v8, v9, 1.0
	s_delay_alu instid0(VALU_DEP_1) | instskip(NEXT) | instid1(VALU_DEP_1)
	v_fmac_f32_e32 v9, v10, v9
	v_mul_f32_e32 v10, v11, v9
	s_delay_alu instid0(VALU_DEP_1) | instskip(NEXT) | instid1(VALU_DEP_1)
	v_fma_f32 v12, -v8, v10, v11
	v_fmac_f32_e32 v10, v12, v9
	s_delay_alu instid0(VALU_DEP_1) | instskip(NEXT) | instid1(VALU_DEP_1)
	v_fma_f32 v8, -v8, v10, v11
	v_div_fmas_f32 v8, v8, v9, v10
	s_delay_alu instid0(VALU_DEP_1) | instskip(NEXT) | instid1(VALU_DEP_1)
	v_div_fixup_f32 v7, v8, 0x43e00000, v7
	v_cmp_gt_f32_e32 vcc_lo, 0x800000, v7
	v_cndmask_b32_e64 v8, 1.0, 0x4f800000, vcc_lo
	s_delay_alu instid0(VALU_DEP_1) | instskip(SKIP_1) | instid1(VALU_DEP_2)
	v_mul_f32_e32 v7, v7, v8
	v_cndmask_b32_e64 v8, 0, 0x42000000, vcc_lo
	v_log_f32_e32 v7, v7
	s_waitcnt_depctr 0xfff
	v_sub_f32_e32 v7, v7, v8
	s_delay_alu instid0(VALU_DEP_1) | instskip(NEXT) | instid1(VALU_DEP_1)
	v_ceil_f32_e32 v11, v7
	v_cmp_lt_f32_e32 vcc_lo, 0x42fc0000, v11
	v_cndmask_b32_e64 v7, 0, 0x42800000, vcc_lo
	v_cndmask_b32_e64 v8, 1.0, 0x1f800000, vcc_lo
	s_delay_alu instid0(VALU_DEP_2) | instskip(NEXT) | instid1(VALU_DEP_1)
	v_sub_f32_e32 v7, v7, v11
	v_exp_f32_e32 v7, v7
	s_waitcnt_depctr 0xfff
	v_mul_f32_e32 v14, v7, v8
	s_delay_alu instid0(VALU_DEP_1) | instskip(NEXT) | instid1(VALU_DEP_1)
	v_dual_mov_b32 v8, 0 :: v_dual_mul_f32 v7, v14, v36
	v_mov_b32_e32 v18, v8
	s_delay_alu instid0(VALU_DEP_2) | instskip(SKIP_1) | instid1(VALU_DEP_1)
	v_maxmin_f32 v9, v7, s0, 0x43e00000
	s_mov_b32 s0, exec_lo
	v_lshrrev_b32_e32 v10, 24, v9
	v_and_b32_e32 v17, 0x7f800000, v9
	v_and_b32_e32 v7, 0x7fffff, v9
	s_delay_alu instid0(VALU_DEP_3) | instskip(NEXT) | instid1(VALU_DEP_1)
	v_and_b32_e32 v15, 0x80, v10
	v_or_b32_e32 v12, 0x7e, v15
	s_delay_alu instid0(VALU_DEP_4)
	v_cmpx_ne_u64_e32 0x7f800000, v[17:18]
	s_xor_b32 s2, exec_lo, s0
	s_cbranch_execz .LBB6_101
; %bb.86:
	v_dual_mov_b32 v18, v8 :: v_dual_and_b32 v17, 0x7fffffff, v9
	s_mov_b32 s0, exec_lo
	s_delay_alu instid0(VALU_DEP_1)
	v_cmpx_gt_u64_e32 0x43e00001, v[17:18]
	s_xor_b32 s3, exec_lo, s0
	s_cbranch_execz .LBB6_100
; %bb.87:
	v_mov_b32_e32 v12, 0
	s_mov_b32 s4, exec_lo
	v_cmpx_ne_u32_e32 0, v9
	s_cbranch_execz .LBB6_99
; %bb.88:
	v_bfe_u32 v12, v9, 23, 8
	v_or_b32_e32 v18, 0x800000, v7
	s_delay_alu instid0(VALU_DEP_2) | instskip(SKIP_1) | instid1(VALU_DEP_2)
	v_sub_nc_u32_e32 v9, 0x79, v12
	v_cmp_gt_u32_e32 vcc_lo, 0x7a, v12
	v_cndmask_b32_e32 v9, 0, v9, vcc_lo
	v_cmp_eq_u32_e32 vcc_lo, 0, v12
	s_delay_alu instid0(VALU_DEP_2) | instskip(NEXT) | instid1(VALU_DEP_1)
	v_cndmask_b32_e64 v17, v9, 0x78, vcc_lo
	v_dual_cndmask_b32 v7, v18, v7 :: v_dual_add_nc_u32 v18, 19, v17
	v_add_nc_u32_e32 v9, 20, v17
	s_delay_alu instid0(VALU_DEP_1) | instskip(NEXT) | instid1(VALU_DEP_1)
	v_lshlrev_b64 v[9:10], v9, -1
	v_not_b32_e32 v20, v9
	s_delay_alu instid0(VALU_DEP_2) | instskip(SKIP_1) | instid1(VALU_DEP_3)
	v_not_b32_e32 v19, v10
	v_lshlrev_b64 v[9:10], v18, 1
	v_and_b32_e32 v18, v7, v20
	v_lshrrev_b64 v[7:8], v17, v[7:8]
	s_delay_alu instid0(VALU_DEP_4) | instskip(NEXT) | instid1(VALU_DEP_1)
	v_and_b32_e32 v19, 0, v19
	v_cmp_eq_u64_e64 s0, v[18:19], v[9:10]
	s_delay_alu instid0(VALU_DEP_3) | instskip(NEXT) | instid1(VALU_DEP_2)
	v_dual_mov_b32 v10, v8 :: v_dual_mov_b32 v9, v7
	s_and_saveexec_b32 s5, s0
; %bb.89:
	v_bfe_u32 v9, v7, 20, 1
	s_delay_alu instid0(VALU_DEP_1) | instskip(NEXT) | instid1(VALU_DEP_1)
	v_add_co_u32 v9, s0, v7, v9
	v_add_co_u32 v9, s0, v9, -1
; %bb.90:
	s_or_b32 exec_lo, exec_lo, s5
	v_add_nc_u32_e32 v10, 0xffffff81, v12
	v_lshrrev_b32_e32 v12, 23, v7
	s_delay_alu instid0(VALU_DEP_3) | instskip(SKIP_1) | instid1(VALU_DEP_3)
	v_and_b32_e32 v9, 0xfffff, v9
	s_mov_b32 s0, exec_lo
	v_cndmask_b32_e64 v10, v10, 0xffffff82, vcc_lo
	s_delay_alu instid0(VALU_DEP_2) | instskip(SKIP_1) | instid1(VALU_DEP_3)
	v_add_co_u32 v7, vcc_lo, v9, v7
	v_add_co_ci_u32_e32 v8, vcc_lo, 0, v8, vcc_lo
	v_add3_u32 v10, v17, v10, v12
                                        ; implicit-def: $vgpr9
	s_delay_alu instid0(VALU_DEP_1) | instskip(NEXT) | instid1(VALU_DEP_1)
	v_add_nc_u32_e32 v12, 6, v10
	v_cmpx_ne_u32_e32 0, v12
	s_xor_b32 s0, exec_lo, s0
; %bb.91:
	v_cmp_lt_u64_e32 vcc_lo, 0xffffff, v[7:8]
	v_add_nc_u32_e32 v9, 7, v10
	v_cndmask_b32_e64 v10, 0, 1, vcc_lo
	s_delay_alu instid0(VALU_DEP_2) | instskip(NEXT) | instid1(VALU_DEP_2)
	v_cndmask_b32_e32 v9, v12, v9, vcc_lo
	v_lshrrev_b64 v[7:8], v10, v[7:8]
; %bb.92:
	s_and_not1_saveexec_b32 s0, s0
; %bb.93:
	s_delay_alu instid0(VALU_DEP_1)
	v_bfe_u32 v9, v7, 23, 1
; %bb.94:
	s_or_b32 exec_lo, exec_lo, s0
	s_delay_alu instid0(VALU_DEP_2) | instskip(NEXT) | instid1(VALU_DEP_2)
	v_lshrrev_b64 v[7:8], 20, v[7:8]
	v_cmp_gt_i32_e32 vcc_lo, 16, v9
	v_cmp_ne_u32_e64 s0, 0, v9
                                        ; implicit-def: $vgpr12
	s_delay_alu instid0(VALU_DEP_3) | instskip(NEXT) | instid1(VALU_DEP_1)
	v_dual_cndmask_b32 v8, 0, v8 :: v_dual_cndmask_b32 v7, 7, v7
	v_cmp_ne_u64_e32 vcc_lo, 0, v[7:8]
	s_delay_alu instid0(VALU_DEP_3) | instskip(NEXT) | instid1(SALU_CYCLE_1)
	s_or_b32 s0, s0, vcc_lo
	s_and_saveexec_b32 s5, s0
	s_delay_alu instid0(SALU_CYCLE_1)
	s_xor_b32 s0, exec_lo, s5
; %bb.95:
	v_min_i32_e32 v8, 15, v9
	s_delay_alu instid0(VALU_DEP_1) | instskip(NEXT) | instid1(VALU_DEP_1)
	v_lshl_or_b32 v8, v8, 3, v15
                                        ; implicit-def: $vgpr15
	v_and_or_b32 v12, v7, 7, v8
; %bb.96:
	s_and_not1_saveexec_b32 s0, s0
; %bb.97:
	v_mov_b32_e32 v12, v15
; %bb.98:
	s_or_b32 exec_lo, exec_lo, s0
.LBB6_99:
	s_delay_alu instid0(SALU_CYCLE_1)
	s_or_b32 exec_lo, exec_lo, s4
.LBB6_100:
	s_and_not1_saveexec_b32 s0, s3
	s_delay_alu instid0(SALU_CYCLE_1)
	s_or_b32 exec_lo, exec_lo, s0
                                        ; implicit-def: $vgpr10
                                        ; implicit-def: $vgpr7_vgpr8
.LBB6_101:
	s_and_not1_saveexec_b32 s0, s2
; %bb.102:
	v_cmp_eq_u64_e32 vcc_lo, 0, v[7:8]
	v_or_b32_e32 v9, 0x7f, v10
	s_delay_alu instid0(VALU_DEP_1)
	v_cndmask_b32_e32 v12, v9, v12, vcc_lo
; %bb.103:
	s_or_b32 exec_lo, exec_lo, s0
	v_dual_mul_f32 v7, v14, v33 :: v_dual_mov_b32 v8, 0
	s_mov_b32 s0, 0xc3e00000
	s_delay_alu instid0(VALU_DEP_1) | instid1(SALU_CYCLE_1)
	v_maxmin_f32 v9, v7, s0, 0x43e00000
	s_mov_b32 s0, exec_lo
	s_delay_alu instid0(VALU_DEP_2) | instskip(NEXT) | instid1(VALU_DEP_2)
	v_mov_b32_e32 v19, v8
	v_lshrrev_b32_e32 v10, 24, v9
	v_and_b32_e32 v18, 0x7f800000, v9
	v_and_b32_e32 v7, 0x7fffff, v9
	s_delay_alu instid0(VALU_DEP_3) | instskip(NEXT) | instid1(VALU_DEP_1)
	v_and_b32_e32 v17, 0x80, v10
	v_or_b32_e32 v15, 0x7e, v17
	s_delay_alu instid0(VALU_DEP_4)
	v_cmpx_ne_u64_e32 0x7f800000, v[18:19]
	s_xor_b32 s2, exec_lo, s0
	s_cbranch_execz .LBB6_119
; %bb.104:
	v_dual_mov_b32 v19, v8 :: v_dual_and_b32 v18, 0x7fffffff, v9
	s_mov_b32 s0, exec_lo
	s_delay_alu instid0(VALU_DEP_1)
	v_cmpx_gt_u64_e32 0x43e00001, v[18:19]
	s_xor_b32 s3, exec_lo, s0
	s_cbranch_execz .LBB6_118
; %bb.105:
	v_mov_b32_e32 v15, 0
	s_mov_b32 s4, exec_lo
	v_cmpx_ne_u32_e32 0, v9
	s_cbranch_execz .LBB6_117
; %bb.106:
	v_bfe_u32 v15, v9, 23, 8
	v_or_b32_e32 v19, 0x800000, v7
	s_delay_alu instid0(VALU_DEP_2) | instskip(SKIP_1) | instid1(VALU_DEP_2)
	v_sub_nc_u32_e32 v9, 0x79, v15
	v_cmp_gt_u32_e32 vcc_lo, 0x7a, v15
	v_cndmask_b32_e32 v9, 0, v9, vcc_lo
	v_cmp_eq_u32_e32 vcc_lo, 0, v15
	s_delay_alu instid0(VALU_DEP_2) | instskip(SKIP_1) | instid1(VALU_DEP_2)
	v_cndmask_b32_e64 v18, v9, 0x78, vcc_lo
	v_cndmask_b32_e32 v7, v19, v7, vcc_lo
	v_add_nc_u32_e32 v9, 20, v18
	v_add_nc_u32_e32 v19, 19, v18
	s_delay_alu instid0(VALU_DEP_2) | instskip(NEXT) | instid1(VALU_DEP_1)
	v_lshlrev_b64 v[9:10], v9, -1
	v_not_b32_e32 v33, v9
	s_delay_alu instid0(VALU_DEP_2) | instskip(NEXT) | instid1(VALU_DEP_4)
	v_not_b32_e32 v20, v10
	v_lshlrev_b64 v[9:10], v19, 1
	s_delay_alu instid0(VALU_DEP_3) | instskip(SKIP_1) | instid1(VALU_DEP_4)
	v_and_b32_e32 v19, v7, v33
	v_lshrrev_b64 v[7:8], v18, v[7:8]
	v_and_b32_e32 v20, 0, v20
	s_delay_alu instid0(VALU_DEP_1) | instskip(NEXT) | instid1(VALU_DEP_3)
	v_cmp_eq_u64_e64 s0, v[19:20], v[9:10]
	v_dual_mov_b32 v10, v8 :: v_dual_mov_b32 v9, v7
	s_delay_alu instid0(VALU_DEP_2)
	s_and_saveexec_b32 s5, s0
; %bb.107:
	v_bfe_u32 v9, v7, 20, 1
	s_delay_alu instid0(VALU_DEP_1) | instskip(NEXT) | instid1(VALU_DEP_1)
	v_add_co_u32 v9, s0, v7, v9
	v_add_co_u32 v9, s0, v9, -1
; %bb.108:
	s_or_b32 exec_lo, exec_lo, s5
	v_add_nc_u32_e32 v10, 0xffffff81, v15
	v_lshrrev_b32_e32 v15, 23, v7
	s_delay_alu instid0(VALU_DEP_3) | instskip(SKIP_1) | instid1(VALU_DEP_3)
	v_and_b32_e32 v9, 0xfffff, v9
	s_mov_b32 s0, exec_lo
	v_cndmask_b32_e64 v10, v10, 0xffffff82, vcc_lo
	s_delay_alu instid0(VALU_DEP_2) | instskip(SKIP_1) | instid1(VALU_DEP_3)
	v_add_co_u32 v7, vcc_lo, v9, v7
	v_add_co_ci_u32_e32 v8, vcc_lo, 0, v8, vcc_lo
	v_add3_u32 v10, v18, v10, v15
                                        ; implicit-def: $vgpr9
	s_delay_alu instid0(VALU_DEP_1) | instskip(NEXT) | instid1(VALU_DEP_1)
	v_add_nc_u32_e32 v15, 6, v10
	v_cmpx_ne_u32_e32 0, v15
	s_xor_b32 s0, exec_lo, s0
; %bb.109:
	v_cmp_lt_u64_e32 vcc_lo, 0xffffff, v[7:8]
	v_add_nc_u32_e32 v9, 7, v10
	v_cndmask_b32_e64 v10, 0, 1, vcc_lo
	s_delay_alu instid0(VALU_DEP_2) | instskip(NEXT) | instid1(VALU_DEP_2)
	v_cndmask_b32_e32 v9, v15, v9, vcc_lo
	v_lshrrev_b64 v[7:8], v10, v[7:8]
; %bb.110:
	s_and_not1_saveexec_b32 s0, s0
; %bb.111:
	s_delay_alu instid0(VALU_DEP_1)
	v_bfe_u32 v9, v7, 23, 1
; %bb.112:
	s_or_b32 exec_lo, exec_lo, s0
	s_delay_alu instid0(VALU_DEP_2) | instskip(NEXT) | instid1(VALU_DEP_2)
	v_lshrrev_b64 v[7:8], 20, v[7:8]
	v_cmp_gt_i32_e32 vcc_lo, 16, v9
	v_cmp_ne_u32_e64 s0, 0, v9
                                        ; implicit-def: $vgpr15
	s_delay_alu instid0(VALU_DEP_3) | instskip(NEXT) | instid1(VALU_DEP_1)
	v_dual_cndmask_b32 v8, 0, v8 :: v_dual_cndmask_b32 v7, 7, v7
	v_cmp_ne_u64_e32 vcc_lo, 0, v[7:8]
	s_delay_alu instid0(VALU_DEP_3) | instskip(NEXT) | instid1(SALU_CYCLE_1)
	s_or_b32 s0, s0, vcc_lo
	s_and_saveexec_b32 s5, s0
	s_delay_alu instid0(SALU_CYCLE_1)
	s_xor_b32 s0, exec_lo, s5
; %bb.113:
	v_min_i32_e32 v8, 15, v9
	s_delay_alu instid0(VALU_DEP_1) | instskip(NEXT) | instid1(VALU_DEP_1)
	v_lshl_or_b32 v8, v8, 3, v17
                                        ; implicit-def: $vgpr17
	v_and_or_b32 v15, v7, 7, v8
; %bb.114:
	s_and_not1_saveexec_b32 s0, s0
; %bb.115:
	v_mov_b32_e32 v15, v17
; %bb.116:
	s_or_b32 exec_lo, exec_lo, s0
.LBB6_117:
	s_delay_alu instid0(SALU_CYCLE_1)
	s_or_b32 exec_lo, exec_lo, s4
.LBB6_118:
	s_and_not1_saveexec_b32 s0, s3
	s_delay_alu instid0(SALU_CYCLE_1)
	s_or_b32 exec_lo, exec_lo, s0
                                        ; implicit-def: $vgpr10
                                        ; implicit-def: $vgpr7_vgpr8
.LBB6_119:
	s_and_not1_saveexec_b32 s0, s2
; %bb.120:
	v_cmp_eq_u64_e32 vcc_lo, 0, v[7:8]
	v_or_b32_e32 v9, 0x7f, v10
	s_delay_alu instid0(VALU_DEP_1)
	v_cndmask_b32_e32 v15, v9, v15, vcc_lo
; %bb.121:
	s_or_b32 exec_lo, exec_lo, s0
	v_dual_mul_f32 v7, v14, v32 :: v_dual_mov_b32 v8, 0
	s_mov_b32 s0, 0xc3e00000
	s_delay_alu instid0(VALU_DEP_1) | instid1(SALU_CYCLE_1)
	v_maxmin_f32 v9, v7, s0, 0x43e00000
	s_mov_b32 s0, exec_lo
	s_delay_alu instid0(VALU_DEP_2) | instskip(NEXT) | instid1(VALU_DEP_2)
	v_mov_b32_e32 v20, v8
	v_lshrrev_b32_e32 v10, 24, v9
	v_and_b32_e32 v19, 0x7f800000, v9
	v_and_b32_e32 v7, 0x7fffff, v9
	s_delay_alu instid0(VALU_DEP_3) | instskip(NEXT) | instid1(VALU_DEP_1)
	v_and_b32_e32 v18, 0x80, v10
	v_or_b32_e32 v17, 0x7e, v18
	s_delay_alu instid0(VALU_DEP_4)
	v_cmpx_ne_u64_e32 0x7f800000, v[19:20]
	s_xor_b32 s2, exec_lo, s0
	s_cbranch_execz .LBB6_137
; %bb.122:
	v_dual_mov_b32 v20, v8 :: v_dual_and_b32 v19, 0x7fffffff, v9
	s_mov_b32 s0, exec_lo
	s_delay_alu instid0(VALU_DEP_1)
	v_cmpx_gt_u64_e32 0x43e00001, v[19:20]
	s_xor_b32 s3, exec_lo, s0
	s_cbranch_execz .LBB6_136
; %bb.123:
	v_mov_b32_e32 v17, 0
	s_mov_b32 s4, exec_lo
	v_cmpx_ne_u32_e32 0, v9
	s_cbranch_execz .LBB6_135
; %bb.124:
	v_bfe_u32 v17, v9, 23, 8
	v_or_b32_e32 v20, 0x800000, v7
	s_delay_alu instid0(VALU_DEP_2) | instskip(SKIP_1) | instid1(VALU_DEP_2)
	v_sub_nc_u32_e32 v9, 0x79, v17
	v_cmp_gt_u32_e32 vcc_lo, 0x7a, v17
	v_cndmask_b32_e32 v9, 0, v9, vcc_lo
	v_cmp_eq_u32_e32 vcc_lo, 0, v17
	s_delay_alu instid0(VALU_DEP_2) | instskip(SKIP_1) | instid1(VALU_DEP_2)
	v_cndmask_b32_e64 v19, v9, 0x78, vcc_lo
	v_cndmask_b32_e32 v7, v20, v7, vcc_lo
	v_add_nc_u32_e32 v20, 19, v19
	v_add_nc_u32_e32 v9, 20, v19
	s_delay_alu instid0(VALU_DEP_1) | instskip(NEXT) | instid1(VALU_DEP_1)
	v_lshlrev_b64 v[9:10], v9, -1
	v_not_b32_e32 v32, v10
	s_delay_alu instid0(VALU_DEP_2) | instskip(SKIP_1) | instid1(VALU_DEP_3)
	v_not_b32_e32 v34, v9
	v_lshlrev_b64 v[9:10], v20, 1
	v_and_b32_e32 v33, 0, v32
	s_delay_alu instid0(VALU_DEP_3) | instskip(SKIP_1) | instid1(VALU_DEP_2)
	v_and_b32_e32 v32, v7, v34
	v_lshrrev_b64 v[7:8], v19, v[7:8]
	v_cmp_eq_u64_e64 s0, v[32:33], v[9:10]
	s_delay_alu instid0(VALU_DEP_2) | instskip(NEXT) | instid1(VALU_DEP_2)
	v_dual_mov_b32 v10, v8 :: v_dual_mov_b32 v9, v7
	s_and_saveexec_b32 s5, s0
; %bb.125:
	v_bfe_u32 v9, v7, 20, 1
	s_delay_alu instid0(VALU_DEP_1) | instskip(NEXT) | instid1(VALU_DEP_1)
	v_add_co_u32 v9, s0, v7, v9
	v_add_co_u32 v9, s0, v9, -1
; %bb.126:
	s_or_b32 exec_lo, exec_lo, s5
	v_add_nc_u32_e32 v10, 0xffffff81, v17
	v_lshrrev_b32_e32 v17, 23, v7
	s_delay_alu instid0(VALU_DEP_3) | instskip(SKIP_1) | instid1(VALU_DEP_3)
	v_and_b32_e32 v9, 0xfffff, v9
	s_mov_b32 s0, exec_lo
	v_cndmask_b32_e64 v10, v10, 0xffffff82, vcc_lo
	s_delay_alu instid0(VALU_DEP_2) | instskip(SKIP_1) | instid1(VALU_DEP_3)
	v_add_co_u32 v7, vcc_lo, v9, v7
	v_add_co_ci_u32_e32 v8, vcc_lo, 0, v8, vcc_lo
	v_add3_u32 v10, v19, v10, v17
                                        ; implicit-def: $vgpr9
	s_delay_alu instid0(VALU_DEP_1) | instskip(NEXT) | instid1(VALU_DEP_1)
	v_add_nc_u32_e32 v17, 6, v10
	v_cmpx_ne_u32_e32 0, v17
	s_xor_b32 s0, exec_lo, s0
; %bb.127:
	v_cmp_lt_u64_e32 vcc_lo, 0xffffff, v[7:8]
	v_add_nc_u32_e32 v9, 7, v10
	v_cndmask_b32_e64 v10, 0, 1, vcc_lo
	s_delay_alu instid0(VALU_DEP_2) | instskip(NEXT) | instid1(VALU_DEP_2)
	v_cndmask_b32_e32 v9, v17, v9, vcc_lo
	v_lshrrev_b64 v[7:8], v10, v[7:8]
; %bb.128:
	s_and_not1_saveexec_b32 s0, s0
; %bb.129:
	s_delay_alu instid0(VALU_DEP_1)
	v_bfe_u32 v9, v7, 23, 1
; %bb.130:
	s_or_b32 exec_lo, exec_lo, s0
	s_delay_alu instid0(VALU_DEP_2) | instskip(NEXT) | instid1(VALU_DEP_2)
	v_lshrrev_b64 v[7:8], 20, v[7:8]
	v_cmp_gt_i32_e32 vcc_lo, 16, v9
	v_cmp_ne_u32_e64 s0, 0, v9
                                        ; implicit-def: $vgpr17
	s_delay_alu instid0(VALU_DEP_3) | instskip(NEXT) | instid1(VALU_DEP_1)
	v_dual_cndmask_b32 v8, 0, v8 :: v_dual_cndmask_b32 v7, 7, v7
	v_cmp_ne_u64_e32 vcc_lo, 0, v[7:8]
	s_delay_alu instid0(VALU_DEP_3) | instskip(NEXT) | instid1(SALU_CYCLE_1)
	s_or_b32 s0, s0, vcc_lo
	s_and_saveexec_b32 s5, s0
	s_delay_alu instid0(SALU_CYCLE_1)
	s_xor_b32 s0, exec_lo, s5
; %bb.131:
	v_min_i32_e32 v8, 15, v9
	s_delay_alu instid0(VALU_DEP_1) | instskip(NEXT) | instid1(VALU_DEP_1)
	v_lshl_or_b32 v8, v8, 3, v18
                                        ; implicit-def: $vgpr18
	v_and_or_b32 v17, v7, 7, v8
; %bb.132:
	s_and_not1_saveexec_b32 s0, s0
; %bb.133:
	v_mov_b32_e32 v17, v18
; %bb.134:
	s_or_b32 exec_lo, exec_lo, s0
.LBB6_135:
	s_delay_alu instid0(SALU_CYCLE_1)
	s_or_b32 exec_lo, exec_lo, s4
.LBB6_136:
	s_and_not1_saveexec_b32 s0, s3
	s_delay_alu instid0(SALU_CYCLE_1)
	s_or_b32 exec_lo, exec_lo, s0
                                        ; implicit-def: $vgpr10
                                        ; implicit-def: $vgpr7_vgpr8
.LBB6_137:
	s_and_not1_saveexec_b32 s0, s2
; %bb.138:
	v_cmp_eq_u64_e32 vcc_lo, 0, v[7:8]
	v_or_b32_e32 v9, 0x7f, v10
	s_delay_alu instid0(VALU_DEP_1)
	v_cndmask_b32_e32 v17, v9, v17, vcc_lo
; %bb.139:
	s_or_b32 exec_lo, exec_lo, s0
	v_dual_mul_f32 v7, v14, v31 :: v_dual_mov_b32 v8, 0
	s_mov_b32 s0, 0xc3e00000
	s_delay_alu instid0(VALU_DEP_1) | instid1(SALU_CYCLE_1)
	v_maxmin_f32 v9, v7, s0, 0x43e00000
	s_mov_b32 s0, exec_lo
	s_delay_alu instid0(VALU_DEP_2) | instskip(NEXT) | instid1(VALU_DEP_2)
	v_mov_b32_e32 v32, v8
	v_lshrrev_b32_e32 v10, 24, v9
	v_and_b32_e32 v31, 0x7f800000, v9
	v_and_b32_e32 v7, 0x7fffff, v9
	s_delay_alu instid0(VALU_DEP_3) | instskip(NEXT) | instid1(VALU_DEP_1)
	v_and_b32_e32 v19, 0x80, v10
	v_or_b32_e32 v18, 0x7e, v19
	s_delay_alu instid0(VALU_DEP_4)
	v_cmpx_ne_u64_e32 0x7f800000, v[31:32]
	s_xor_b32 s2, exec_lo, s0
	s_cbranch_execz .LBB6_155
; %bb.140:
	v_dual_mov_b32 v32, v8 :: v_dual_and_b32 v31, 0x7fffffff, v9
	s_mov_b32 s0, exec_lo
	s_delay_alu instid0(VALU_DEP_1)
	v_cmpx_gt_u64_e32 0x43e00001, v[31:32]
	s_xor_b32 s3, exec_lo, s0
	s_cbranch_execz .LBB6_154
; %bb.141:
	v_mov_b32_e32 v18, 0
	s_mov_b32 s4, exec_lo
	v_cmpx_ne_u32_e32 0, v9
	s_cbranch_execz .LBB6_153
; %bb.142:
	v_bfe_u32 v18, v9, 23, 8
	v_or_b32_e32 v31, 0x800000, v7
	s_delay_alu instid0(VALU_DEP_2) | instskip(SKIP_1) | instid1(VALU_DEP_2)
	v_sub_nc_u32_e32 v9, 0x79, v18
	v_cmp_gt_u32_e32 vcc_lo, 0x7a, v18
	v_cndmask_b32_e32 v9, 0, v9, vcc_lo
	v_cmp_eq_u32_e32 vcc_lo, 0, v18
	s_delay_alu instid0(VALU_DEP_2) | instskip(SKIP_1) | instid1(VALU_DEP_2)
	v_cndmask_b32_e64 v20, v9, 0x78, vcc_lo
	v_cndmask_b32_e32 v7, v31, v7, vcc_lo
	v_add_nc_u32_e32 v9, 20, v20
	v_add_nc_u32_e32 v31, 19, v20
	s_delay_alu instid0(VALU_DEP_2) | instskip(NEXT) | instid1(VALU_DEP_1)
	v_lshlrev_b64 v[9:10], v9, -1
	v_not_b32_e32 v33, v9
	s_delay_alu instid0(VALU_DEP_2) | instskip(NEXT) | instid1(VALU_DEP_4)
	v_not_b32_e32 v32, v10
	v_lshlrev_b64 v[9:10], v31, 1
	s_delay_alu instid0(VALU_DEP_3) | instskip(SKIP_1) | instid1(VALU_DEP_4)
	v_and_b32_e32 v31, v7, v33
	v_lshrrev_b64 v[7:8], v20, v[7:8]
	v_and_b32_e32 v32, 0, v32
	s_delay_alu instid0(VALU_DEP_1) | instskip(NEXT) | instid1(VALU_DEP_3)
	v_cmp_eq_u64_e64 s0, v[31:32], v[9:10]
	v_dual_mov_b32 v10, v8 :: v_dual_mov_b32 v9, v7
	s_delay_alu instid0(VALU_DEP_2)
	s_and_saveexec_b32 s5, s0
; %bb.143:
	v_bfe_u32 v9, v7, 20, 1
	s_delay_alu instid0(VALU_DEP_1) | instskip(NEXT) | instid1(VALU_DEP_1)
	v_add_co_u32 v9, s0, v7, v9
	v_add_co_u32 v9, s0, v9, -1
; %bb.144:
	s_or_b32 exec_lo, exec_lo, s5
	v_add_nc_u32_e32 v10, 0xffffff81, v18
	v_lshrrev_b32_e32 v18, 23, v7
	s_delay_alu instid0(VALU_DEP_3) | instskip(SKIP_1) | instid1(VALU_DEP_3)
	v_and_b32_e32 v9, 0xfffff, v9
	s_mov_b32 s0, exec_lo
	v_cndmask_b32_e64 v10, v10, 0xffffff82, vcc_lo
	s_delay_alu instid0(VALU_DEP_2) | instskip(SKIP_1) | instid1(VALU_DEP_3)
	v_add_co_u32 v7, vcc_lo, v9, v7
	v_add_co_ci_u32_e32 v8, vcc_lo, 0, v8, vcc_lo
	v_add3_u32 v10, v20, v10, v18
                                        ; implicit-def: $vgpr9
	s_delay_alu instid0(VALU_DEP_1) | instskip(NEXT) | instid1(VALU_DEP_1)
	v_add_nc_u32_e32 v18, 6, v10
	v_cmpx_ne_u32_e32 0, v18
	s_xor_b32 s0, exec_lo, s0
; %bb.145:
	v_cmp_lt_u64_e32 vcc_lo, 0xffffff, v[7:8]
	v_add_nc_u32_e32 v9, 7, v10
	v_cndmask_b32_e64 v10, 0, 1, vcc_lo
	s_delay_alu instid0(VALU_DEP_2) | instskip(NEXT) | instid1(VALU_DEP_2)
	v_cndmask_b32_e32 v9, v18, v9, vcc_lo
	v_lshrrev_b64 v[7:8], v10, v[7:8]
; %bb.146:
	s_and_not1_saveexec_b32 s0, s0
; %bb.147:
	s_delay_alu instid0(VALU_DEP_1)
	v_bfe_u32 v9, v7, 23, 1
; %bb.148:
	s_or_b32 exec_lo, exec_lo, s0
	s_delay_alu instid0(VALU_DEP_2) | instskip(NEXT) | instid1(VALU_DEP_2)
	v_lshrrev_b64 v[7:8], 20, v[7:8]
	v_cmp_gt_i32_e32 vcc_lo, 16, v9
	v_cmp_ne_u32_e64 s0, 0, v9
                                        ; implicit-def: $vgpr18
	s_delay_alu instid0(VALU_DEP_3) | instskip(NEXT) | instid1(VALU_DEP_1)
	v_dual_cndmask_b32 v8, 0, v8 :: v_dual_cndmask_b32 v7, 7, v7
	v_cmp_ne_u64_e32 vcc_lo, 0, v[7:8]
	s_delay_alu instid0(VALU_DEP_3) | instskip(NEXT) | instid1(SALU_CYCLE_1)
	s_or_b32 s0, s0, vcc_lo
	s_and_saveexec_b32 s5, s0
	s_delay_alu instid0(SALU_CYCLE_1)
	s_xor_b32 s0, exec_lo, s5
; %bb.149:
	v_min_i32_e32 v8, 15, v9
	s_delay_alu instid0(VALU_DEP_1) | instskip(NEXT) | instid1(VALU_DEP_1)
	v_lshl_or_b32 v8, v8, 3, v19
                                        ; implicit-def: $vgpr19
	v_and_or_b32 v18, v7, 7, v8
; %bb.150:
	s_and_not1_saveexec_b32 s0, s0
; %bb.151:
	v_mov_b32_e32 v18, v19
; %bb.152:
	s_or_b32 exec_lo, exec_lo, s0
.LBB6_153:
	s_delay_alu instid0(SALU_CYCLE_1)
	s_or_b32 exec_lo, exec_lo, s4
.LBB6_154:
	s_and_not1_saveexec_b32 s0, s3
	s_delay_alu instid0(SALU_CYCLE_1)
	s_or_b32 exec_lo, exec_lo, s0
                                        ; implicit-def: $vgpr10
                                        ; implicit-def: $vgpr7_vgpr8
.LBB6_155:
	s_and_not1_saveexec_b32 s0, s2
; %bb.156:
	v_cmp_eq_u64_e32 vcc_lo, 0, v[7:8]
	v_or_b32_e32 v9, 0x7f, v10
	s_delay_alu instid0(VALU_DEP_1)
	v_cndmask_b32_e32 v18, v9, v18, vcc_lo
; %bb.157:
	s_or_b32 exec_lo, exec_lo, s0
	v_dual_mul_f32 v7, v14, v30 :: v_dual_mov_b32 v8, 0
	s_mov_b32 s0, 0xc3e00000
	s_delay_alu instid0(VALU_DEP_1) | instid1(SALU_CYCLE_1)
	v_maxmin_f32 v9, v7, s0, 0x43e00000
	s_mov_b32 s0, exec_lo
	s_delay_alu instid0(VALU_DEP_2) | instskip(NEXT) | instid1(VALU_DEP_2)
	v_mov_b32_e32 v31, v8
	v_lshrrev_b32_e32 v10, 24, v9
	v_and_b32_e32 v30, 0x7f800000, v9
	v_and_b32_e32 v7, 0x7fffff, v9
	s_delay_alu instid0(VALU_DEP_3) | instskip(NEXT) | instid1(VALU_DEP_1)
	v_and_b32_e32 v20, 0x80, v10
	v_or_b32_e32 v19, 0x7e, v20
	s_delay_alu instid0(VALU_DEP_4)
	v_cmpx_ne_u64_e32 0x7f800000, v[30:31]
	s_xor_b32 s2, exec_lo, s0
	s_cbranch_execz .LBB6_173
; %bb.158:
	v_dual_mov_b32 v31, v8 :: v_dual_and_b32 v30, 0x7fffffff, v9
	s_mov_b32 s0, exec_lo
	s_delay_alu instid0(VALU_DEP_1)
	v_cmpx_gt_u64_e32 0x43e00001, v[30:31]
	s_xor_b32 s3, exec_lo, s0
	s_cbranch_execz .LBB6_172
; %bb.159:
	v_mov_b32_e32 v19, 0
	s_mov_b32 s4, exec_lo
	v_cmpx_ne_u32_e32 0, v9
	s_cbranch_execz .LBB6_171
; %bb.160:
	v_bfe_u32 v19, v9, 23, 8
	v_or_b32_e32 v31, 0x800000, v7
	s_delay_alu instid0(VALU_DEP_2) | instskip(SKIP_1) | instid1(VALU_DEP_2)
	v_sub_nc_u32_e32 v9, 0x79, v19
	v_cmp_gt_u32_e32 vcc_lo, 0x7a, v19
	v_cndmask_b32_e32 v9, 0, v9, vcc_lo
	v_cmp_eq_u32_e32 vcc_lo, 0, v19
	s_delay_alu instid0(VALU_DEP_2) | instskip(SKIP_1) | instid1(VALU_DEP_2)
	v_cndmask_b32_e64 v30, v9, 0x78, vcc_lo
	v_cndmask_b32_e32 v7, v31, v7, vcc_lo
	v_add_nc_u32_e32 v9, 20, v30
	v_add_nc_u32_e32 v31, 19, v30
	s_delay_alu instid0(VALU_DEP_2) | instskip(NEXT) | instid1(VALU_DEP_1)
	v_lshlrev_b64 v[9:10], v9, -1
	v_not_b32_e32 v33, v9
	s_delay_alu instid0(VALU_DEP_2) | instskip(NEXT) | instid1(VALU_DEP_4)
	v_not_b32_e32 v32, v10
	v_lshlrev_b64 v[9:10], v31, 1
	s_delay_alu instid0(VALU_DEP_3) | instskip(SKIP_1) | instid1(VALU_DEP_4)
	v_and_b32_e32 v31, v7, v33
	v_lshrrev_b64 v[7:8], v30, v[7:8]
	v_and_b32_e32 v32, 0, v32
	s_delay_alu instid0(VALU_DEP_1) | instskip(NEXT) | instid1(VALU_DEP_3)
	v_cmp_eq_u64_e64 s0, v[31:32], v[9:10]
	v_dual_mov_b32 v10, v8 :: v_dual_mov_b32 v9, v7
	s_delay_alu instid0(VALU_DEP_2)
	s_and_saveexec_b32 s5, s0
; %bb.161:
	v_bfe_u32 v9, v7, 20, 1
	s_delay_alu instid0(VALU_DEP_1) | instskip(NEXT) | instid1(VALU_DEP_1)
	v_add_co_u32 v9, s0, v7, v9
	v_add_co_u32 v9, s0, v9, -1
; %bb.162:
	s_or_b32 exec_lo, exec_lo, s5
	v_add_nc_u32_e32 v10, 0xffffff81, v19
	v_lshrrev_b32_e32 v19, 23, v7
	s_delay_alu instid0(VALU_DEP_3) | instskip(SKIP_1) | instid1(VALU_DEP_3)
	v_and_b32_e32 v9, 0xfffff, v9
	s_mov_b32 s0, exec_lo
	v_cndmask_b32_e64 v10, v10, 0xffffff82, vcc_lo
	s_delay_alu instid0(VALU_DEP_2) | instskip(SKIP_1) | instid1(VALU_DEP_3)
	v_add_co_u32 v7, vcc_lo, v9, v7
	v_add_co_ci_u32_e32 v8, vcc_lo, 0, v8, vcc_lo
	v_add3_u32 v10, v30, v10, v19
                                        ; implicit-def: $vgpr9
	s_delay_alu instid0(VALU_DEP_1) | instskip(NEXT) | instid1(VALU_DEP_1)
	v_add_nc_u32_e32 v19, 6, v10
	v_cmpx_ne_u32_e32 0, v19
	s_xor_b32 s0, exec_lo, s0
; %bb.163:
	v_cmp_lt_u64_e32 vcc_lo, 0xffffff, v[7:8]
	v_add_nc_u32_e32 v9, 7, v10
	v_cndmask_b32_e64 v10, 0, 1, vcc_lo
	s_delay_alu instid0(VALU_DEP_2) | instskip(NEXT) | instid1(VALU_DEP_2)
	v_cndmask_b32_e32 v9, v19, v9, vcc_lo
	v_lshrrev_b64 v[7:8], v10, v[7:8]
; %bb.164:
	s_and_not1_saveexec_b32 s0, s0
; %bb.165:
	s_delay_alu instid0(VALU_DEP_1)
	v_bfe_u32 v9, v7, 23, 1
; %bb.166:
	s_or_b32 exec_lo, exec_lo, s0
	s_delay_alu instid0(VALU_DEP_2) | instskip(NEXT) | instid1(VALU_DEP_2)
	v_lshrrev_b64 v[7:8], 20, v[7:8]
	v_cmp_gt_i32_e32 vcc_lo, 16, v9
	v_cmp_ne_u32_e64 s0, 0, v9
                                        ; implicit-def: $vgpr19
	s_delay_alu instid0(VALU_DEP_3) | instskip(NEXT) | instid1(VALU_DEP_1)
	v_dual_cndmask_b32 v8, 0, v8 :: v_dual_cndmask_b32 v7, 7, v7
	v_cmp_ne_u64_e32 vcc_lo, 0, v[7:8]
	s_delay_alu instid0(VALU_DEP_3) | instskip(NEXT) | instid1(SALU_CYCLE_1)
	s_or_b32 s0, s0, vcc_lo
	s_and_saveexec_b32 s5, s0
	s_delay_alu instid0(SALU_CYCLE_1)
	s_xor_b32 s0, exec_lo, s5
; %bb.167:
	v_min_i32_e32 v8, 15, v9
	s_delay_alu instid0(VALU_DEP_1) | instskip(NEXT) | instid1(VALU_DEP_1)
	v_lshl_or_b32 v8, v8, 3, v20
                                        ; implicit-def: $vgpr20
	v_and_or_b32 v19, v7, 7, v8
; %bb.168:
	s_and_not1_saveexec_b32 s0, s0
; %bb.169:
	v_mov_b32_e32 v19, v20
; %bb.170:
	s_or_b32 exec_lo, exec_lo, s0
.LBB6_171:
	s_delay_alu instid0(SALU_CYCLE_1)
	s_or_b32 exec_lo, exec_lo, s4
.LBB6_172:
	s_and_not1_saveexec_b32 s0, s3
	s_delay_alu instid0(SALU_CYCLE_1)
	s_or_b32 exec_lo, exec_lo, s0
                                        ; implicit-def: $vgpr10
                                        ; implicit-def: $vgpr7_vgpr8
.LBB6_173:
	s_and_not1_saveexec_b32 s0, s2
; %bb.174:
	v_cmp_eq_u64_e32 vcc_lo, 0, v[7:8]
	v_or_b32_e32 v9, 0x7f, v10
	s_delay_alu instid0(VALU_DEP_1)
	v_cndmask_b32_e32 v19, v9, v19, vcc_lo
; %bb.175:
	s_or_b32 exec_lo, exec_lo, s0
	v_dual_mul_f32 v7, v14, v29 :: v_dual_mov_b32 v8, 0
	s_mov_b32 s0, 0xc3e00000
	s_delay_alu instid0(VALU_DEP_1) | instid1(SALU_CYCLE_1)
	v_maxmin_f32 v9, v7, s0, 0x43e00000
	s_mov_b32 s0, exec_lo
	s_delay_alu instid0(VALU_DEP_2) | instskip(NEXT) | instid1(VALU_DEP_2)
	v_mov_b32_e32 v31, v8
	v_lshrrev_b32_e32 v10, 24, v9
	v_and_b32_e32 v30, 0x7f800000, v9
	v_and_b32_e32 v7, 0x7fffff, v9
	s_delay_alu instid0(VALU_DEP_3) | instskip(NEXT) | instid1(VALU_DEP_1)
	v_and_b32_e32 v29, 0x80, v10
	v_or_b32_e32 v20, 0x7e, v29
	s_delay_alu instid0(VALU_DEP_4)
	v_cmpx_ne_u64_e32 0x7f800000, v[30:31]
	s_xor_b32 s2, exec_lo, s0
	s_cbranch_execz .LBB6_191
; %bb.176:
	v_dual_mov_b32 v31, v8 :: v_dual_and_b32 v30, 0x7fffffff, v9
	s_mov_b32 s0, exec_lo
	s_delay_alu instid0(VALU_DEP_1)
	v_cmpx_gt_u64_e32 0x43e00001, v[30:31]
	s_xor_b32 s3, exec_lo, s0
	s_cbranch_execz .LBB6_190
; %bb.177:
	v_mov_b32_e32 v20, 0
	s_mov_b32 s4, exec_lo
	v_cmpx_ne_u32_e32 0, v9
	s_cbranch_execz .LBB6_189
; %bb.178:
	v_bfe_u32 v20, v9, 23, 8
	v_or_b32_e32 v31, 0x800000, v7
	s_delay_alu instid0(VALU_DEP_2) | instskip(SKIP_1) | instid1(VALU_DEP_2)
	v_sub_nc_u32_e32 v9, 0x79, v20
	v_cmp_gt_u32_e32 vcc_lo, 0x7a, v20
	v_cndmask_b32_e32 v9, 0, v9, vcc_lo
	v_cmp_eq_u32_e32 vcc_lo, 0, v20
	s_delay_alu instid0(VALU_DEP_2) | instskip(SKIP_1) | instid1(VALU_DEP_2)
	v_cndmask_b32_e64 v30, v9, 0x78, vcc_lo
	v_cndmask_b32_e32 v7, v31, v7, vcc_lo
	v_add_nc_u32_e32 v9, 20, v30
	v_add_nc_u32_e32 v31, 19, v30
	s_delay_alu instid0(VALU_DEP_2) | instskip(NEXT) | instid1(VALU_DEP_1)
	v_lshlrev_b64 v[9:10], v9, -1
	v_not_b32_e32 v33, v9
	s_delay_alu instid0(VALU_DEP_2) | instskip(NEXT) | instid1(VALU_DEP_4)
	v_not_b32_e32 v32, v10
	v_lshlrev_b64 v[9:10], v31, 1
	s_delay_alu instid0(VALU_DEP_3) | instskip(SKIP_1) | instid1(VALU_DEP_4)
	v_and_b32_e32 v31, v7, v33
	v_lshrrev_b64 v[7:8], v30, v[7:8]
	v_and_b32_e32 v32, 0, v32
	s_delay_alu instid0(VALU_DEP_1) | instskip(NEXT) | instid1(VALU_DEP_3)
	v_cmp_eq_u64_e64 s0, v[31:32], v[9:10]
	v_dual_mov_b32 v10, v8 :: v_dual_mov_b32 v9, v7
	s_delay_alu instid0(VALU_DEP_2)
	s_and_saveexec_b32 s5, s0
; %bb.179:
	v_bfe_u32 v9, v7, 20, 1
	s_delay_alu instid0(VALU_DEP_1) | instskip(NEXT) | instid1(VALU_DEP_1)
	v_add_co_u32 v9, s0, v7, v9
	v_add_co_u32 v9, s0, v9, -1
; %bb.180:
	s_or_b32 exec_lo, exec_lo, s5
	v_add_nc_u32_e32 v10, 0xffffff81, v20
	v_lshrrev_b32_e32 v20, 23, v7
	s_delay_alu instid0(VALU_DEP_3) | instskip(SKIP_1) | instid1(VALU_DEP_3)
	v_and_b32_e32 v9, 0xfffff, v9
	s_mov_b32 s0, exec_lo
	v_cndmask_b32_e64 v10, v10, 0xffffff82, vcc_lo
	s_delay_alu instid0(VALU_DEP_2) | instskip(SKIP_1) | instid1(VALU_DEP_3)
	v_add_co_u32 v7, vcc_lo, v9, v7
	v_add_co_ci_u32_e32 v8, vcc_lo, 0, v8, vcc_lo
	v_add3_u32 v10, v30, v10, v20
                                        ; implicit-def: $vgpr9
	s_delay_alu instid0(VALU_DEP_1) | instskip(NEXT) | instid1(VALU_DEP_1)
	v_add_nc_u32_e32 v20, 6, v10
	v_cmpx_ne_u32_e32 0, v20
	s_xor_b32 s0, exec_lo, s0
; %bb.181:
	v_cmp_lt_u64_e32 vcc_lo, 0xffffff, v[7:8]
	v_add_nc_u32_e32 v9, 7, v10
	v_cndmask_b32_e64 v10, 0, 1, vcc_lo
	s_delay_alu instid0(VALU_DEP_2) | instskip(NEXT) | instid1(VALU_DEP_2)
	v_cndmask_b32_e32 v9, v20, v9, vcc_lo
	v_lshrrev_b64 v[7:8], v10, v[7:8]
; %bb.182:
	s_and_not1_saveexec_b32 s0, s0
; %bb.183:
	s_delay_alu instid0(VALU_DEP_1)
	v_bfe_u32 v9, v7, 23, 1
; %bb.184:
	s_or_b32 exec_lo, exec_lo, s0
	s_delay_alu instid0(VALU_DEP_2) | instskip(NEXT) | instid1(VALU_DEP_2)
	v_lshrrev_b64 v[7:8], 20, v[7:8]
	v_cmp_gt_i32_e32 vcc_lo, 16, v9
	v_cmp_ne_u32_e64 s0, 0, v9
                                        ; implicit-def: $vgpr20
	s_delay_alu instid0(VALU_DEP_3) | instskip(NEXT) | instid1(VALU_DEP_1)
	v_dual_cndmask_b32 v8, 0, v8 :: v_dual_cndmask_b32 v7, 7, v7
	v_cmp_ne_u64_e32 vcc_lo, 0, v[7:8]
	s_delay_alu instid0(VALU_DEP_3) | instskip(NEXT) | instid1(SALU_CYCLE_1)
	s_or_b32 s0, s0, vcc_lo
	s_and_saveexec_b32 s5, s0
	s_delay_alu instid0(SALU_CYCLE_1)
	s_xor_b32 s0, exec_lo, s5
; %bb.185:
	v_min_i32_e32 v8, 15, v9
	s_delay_alu instid0(VALU_DEP_1) | instskip(NEXT) | instid1(VALU_DEP_1)
	v_lshl_or_b32 v8, v8, 3, v29
                                        ; implicit-def: $vgpr29
	v_and_or_b32 v20, v7, 7, v8
; %bb.186:
	s_and_not1_saveexec_b32 s0, s0
; %bb.187:
	v_mov_b32_e32 v20, v29
; %bb.188:
	s_or_b32 exec_lo, exec_lo, s0
.LBB6_189:
	s_delay_alu instid0(SALU_CYCLE_1)
	s_or_b32 exec_lo, exec_lo, s4
.LBB6_190:
	s_and_not1_saveexec_b32 s0, s3
	s_delay_alu instid0(SALU_CYCLE_1)
	s_or_b32 exec_lo, exec_lo, s0
                                        ; implicit-def: $vgpr10
                                        ; implicit-def: $vgpr7_vgpr8
.LBB6_191:
	s_and_not1_saveexec_b32 s0, s2
; %bb.192:
	v_cmp_eq_u64_e32 vcc_lo, 0, v[7:8]
	v_or_b32_e32 v9, 0x7f, v10
	s_delay_alu instid0(VALU_DEP_1)
	v_cndmask_b32_e32 v20, v9, v20, vcc_lo
; %bb.193:
	s_or_b32 exec_lo, exec_lo, s0
	v_dual_mul_f32 v7, v14, v26 :: v_dual_mov_b32 v8, 0
	s_mov_b32 s0, 0xc3e00000
	s_delay_alu instid0(VALU_DEP_1) | instid1(SALU_CYCLE_1)
	v_maxmin_f32 v9, v7, s0, 0x43e00000
	s_mov_b32 s0, exec_lo
	s_delay_alu instid0(VALU_DEP_2) | instskip(NEXT) | instid1(VALU_DEP_2)
	v_mov_b32_e32 v31, v8
	v_lshrrev_b32_e32 v10, 24, v9
	v_and_b32_e32 v30, 0x7f800000, v9
	v_and_b32_e32 v7, 0x7fffff, v9
	s_delay_alu instid0(VALU_DEP_3) | instskip(NEXT) | instid1(VALU_DEP_1)
	v_and_b32_e32 v29, 0x80, v10
	v_or_b32_e32 v26, 0x7e, v29
	s_delay_alu instid0(VALU_DEP_4)
	v_cmpx_ne_u64_e32 0x7f800000, v[30:31]
	s_xor_b32 s2, exec_lo, s0
	s_cbranch_execz .LBB6_209
; %bb.194:
	v_dual_mov_b32 v31, v8 :: v_dual_and_b32 v30, 0x7fffffff, v9
	s_mov_b32 s0, exec_lo
	s_delay_alu instid0(VALU_DEP_1)
	v_cmpx_gt_u64_e32 0x43e00001, v[30:31]
	s_xor_b32 s3, exec_lo, s0
	s_cbranch_execz .LBB6_208
; %bb.195:
	v_mov_b32_e32 v26, 0
	s_mov_b32 s4, exec_lo
	v_cmpx_ne_u32_e32 0, v9
	s_cbranch_execz .LBB6_207
; %bb.196:
	v_bfe_u32 v26, v9, 23, 8
	v_or_b32_e32 v31, 0x800000, v7
	s_delay_alu instid0(VALU_DEP_2) | instskip(SKIP_1) | instid1(VALU_DEP_2)
	v_sub_nc_u32_e32 v9, 0x79, v26
	v_cmp_gt_u32_e32 vcc_lo, 0x7a, v26
	v_cndmask_b32_e32 v9, 0, v9, vcc_lo
	v_cmp_eq_u32_e32 vcc_lo, 0, v26
	s_delay_alu instid0(VALU_DEP_2) | instskip(SKIP_1) | instid1(VALU_DEP_2)
	v_cndmask_b32_e64 v30, v9, 0x78, vcc_lo
	v_cndmask_b32_e32 v7, v31, v7, vcc_lo
	v_add_nc_u32_e32 v9, 20, v30
	v_add_nc_u32_e32 v31, 19, v30
	s_delay_alu instid0(VALU_DEP_2) | instskip(NEXT) | instid1(VALU_DEP_1)
	v_lshlrev_b64 v[9:10], v9, -1
	v_not_b32_e32 v33, v9
	s_delay_alu instid0(VALU_DEP_2) | instskip(NEXT) | instid1(VALU_DEP_4)
	v_not_b32_e32 v32, v10
	v_lshlrev_b64 v[9:10], v31, 1
	s_delay_alu instid0(VALU_DEP_3) | instskip(SKIP_1) | instid1(VALU_DEP_4)
	v_and_b32_e32 v31, v7, v33
	v_lshrrev_b64 v[7:8], v30, v[7:8]
	v_and_b32_e32 v32, 0, v32
	s_delay_alu instid0(VALU_DEP_1) | instskip(NEXT) | instid1(VALU_DEP_3)
	v_cmp_eq_u64_e64 s0, v[31:32], v[9:10]
	v_dual_mov_b32 v10, v8 :: v_dual_mov_b32 v9, v7
	s_delay_alu instid0(VALU_DEP_2)
	s_and_saveexec_b32 s5, s0
; %bb.197:
	v_bfe_u32 v9, v7, 20, 1
	s_delay_alu instid0(VALU_DEP_1) | instskip(NEXT) | instid1(VALU_DEP_1)
	v_add_co_u32 v9, s0, v7, v9
	v_add_co_u32 v9, s0, v9, -1
; %bb.198:
	s_or_b32 exec_lo, exec_lo, s5
	v_add_nc_u32_e32 v10, 0xffffff81, v26
	v_lshrrev_b32_e32 v26, 23, v7
	s_delay_alu instid0(VALU_DEP_3) | instskip(SKIP_1) | instid1(VALU_DEP_3)
	v_and_b32_e32 v9, 0xfffff, v9
	s_mov_b32 s0, exec_lo
	v_cndmask_b32_e64 v10, v10, 0xffffff82, vcc_lo
	s_delay_alu instid0(VALU_DEP_2) | instskip(SKIP_1) | instid1(VALU_DEP_3)
	v_add_co_u32 v7, vcc_lo, v9, v7
	v_add_co_ci_u32_e32 v8, vcc_lo, 0, v8, vcc_lo
	v_add3_u32 v10, v30, v10, v26
                                        ; implicit-def: $vgpr9
	s_delay_alu instid0(VALU_DEP_1) | instskip(NEXT) | instid1(VALU_DEP_1)
	v_add_nc_u32_e32 v26, 6, v10
	v_cmpx_ne_u32_e32 0, v26
	s_xor_b32 s0, exec_lo, s0
; %bb.199:
	v_cmp_lt_u64_e32 vcc_lo, 0xffffff, v[7:8]
	v_add_nc_u32_e32 v9, 7, v10
	v_cndmask_b32_e64 v10, 0, 1, vcc_lo
	s_delay_alu instid0(VALU_DEP_2) | instskip(NEXT) | instid1(VALU_DEP_2)
	v_cndmask_b32_e32 v9, v26, v9, vcc_lo
	v_lshrrev_b64 v[7:8], v10, v[7:8]
; %bb.200:
	s_and_not1_saveexec_b32 s0, s0
; %bb.201:
	s_delay_alu instid0(VALU_DEP_1)
	v_bfe_u32 v9, v7, 23, 1
; %bb.202:
	s_or_b32 exec_lo, exec_lo, s0
	s_delay_alu instid0(VALU_DEP_2) | instskip(NEXT) | instid1(VALU_DEP_2)
	v_lshrrev_b64 v[7:8], 20, v[7:8]
	v_cmp_gt_i32_e32 vcc_lo, 16, v9
	v_cmp_ne_u32_e64 s0, 0, v9
                                        ; implicit-def: $vgpr26
	s_delay_alu instid0(VALU_DEP_3) | instskip(NEXT) | instid1(VALU_DEP_1)
	v_dual_cndmask_b32 v8, 0, v8 :: v_dual_cndmask_b32 v7, 7, v7
	v_cmp_ne_u64_e32 vcc_lo, 0, v[7:8]
	s_delay_alu instid0(VALU_DEP_3) | instskip(NEXT) | instid1(SALU_CYCLE_1)
	s_or_b32 s0, s0, vcc_lo
	s_and_saveexec_b32 s5, s0
	s_delay_alu instid0(SALU_CYCLE_1)
	s_xor_b32 s0, exec_lo, s5
; %bb.203:
	v_min_i32_e32 v8, 15, v9
	s_delay_alu instid0(VALU_DEP_1) | instskip(NEXT) | instid1(VALU_DEP_1)
	v_lshl_or_b32 v8, v8, 3, v29
                                        ; implicit-def: $vgpr29
	v_and_or_b32 v26, v7, 7, v8
; %bb.204:
	s_and_not1_saveexec_b32 s0, s0
; %bb.205:
	v_mov_b32_e32 v26, v29
; %bb.206:
	s_or_b32 exec_lo, exec_lo, s0
.LBB6_207:
	s_delay_alu instid0(SALU_CYCLE_1)
	s_or_b32 exec_lo, exec_lo, s4
.LBB6_208:
	s_and_not1_saveexec_b32 s0, s3
	s_delay_alu instid0(SALU_CYCLE_1)
	s_or_b32 exec_lo, exec_lo, s0
                                        ; implicit-def: $vgpr10
                                        ; implicit-def: $vgpr7_vgpr8
.LBB6_209:
	s_and_not1_saveexec_b32 s0, s2
; %bb.210:
	v_cmp_eq_u64_e32 vcc_lo, 0, v[7:8]
	v_or_b32_e32 v9, 0x7f, v10
	s_delay_alu instid0(VALU_DEP_1)
	v_cndmask_b32_e32 v26, v9, v26, vcc_lo
; %bb.211:
	s_or_b32 exec_lo, exec_lo, s0
	v_dual_mul_f32 v7, v14, v28 :: v_dual_mov_b32 v8, 0
	s_mov_b32 s0, 0xc3e00000
	s_delay_alu instid0(VALU_DEP_1) | instid1(SALU_CYCLE_1)
	v_maxmin_f32 v9, v7, s0, 0x43e00000
	s_mov_b32 s0, exec_lo
	s_delay_alu instid0(VALU_DEP_2) | instskip(NEXT) | instid1(VALU_DEP_2)
	v_mov_b32_e32 v31, v8
	v_lshrrev_b32_e32 v10, 24, v9
	v_and_b32_e32 v30, 0x7f800000, v9
	v_and_b32_e32 v7, 0x7fffff, v9
	s_delay_alu instid0(VALU_DEP_3) | instskip(NEXT) | instid1(VALU_DEP_1)
	v_and_b32_e32 v29, 0x80, v10
	v_or_b32_e32 v28, 0x7e, v29
	s_delay_alu instid0(VALU_DEP_4)
	v_cmpx_ne_u64_e32 0x7f800000, v[30:31]
	s_xor_b32 s2, exec_lo, s0
	s_cbranch_execz .LBB6_227
; %bb.212:
	v_dual_mov_b32 v31, v8 :: v_dual_and_b32 v30, 0x7fffffff, v9
	s_mov_b32 s0, exec_lo
	s_delay_alu instid0(VALU_DEP_1)
	v_cmpx_gt_u64_e32 0x43e00001, v[30:31]
	s_xor_b32 s3, exec_lo, s0
	s_cbranch_execz .LBB6_226
; %bb.213:
	v_mov_b32_e32 v28, 0
	s_mov_b32 s4, exec_lo
	v_cmpx_ne_u32_e32 0, v9
	s_cbranch_execz .LBB6_225
; %bb.214:
	v_bfe_u32 v28, v9, 23, 8
	v_or_b32_e32 v31, 0x800000, v7
	s_delay_alu instid0(VALU_DEP_2) | instskip(SKIP_1) | instid1(VALU_DEP_2)
	v_sub_nc_u32_e32 v9, 0x79, v28
	v_cmp_gt_u32_e32 vcc_lo, 0x7a, v28
	v_cndmask_b32_e32 v9, 0, v9, vcc_lo
	v_cmp_eq_u32_e32 vcc_lo, 0, v28
	s_delay_alu instid0(VALU_DEP_2) | instskip(SKIP_1) | instid1(VALU_DEP_2)
	v_cndmask_b32_e64 v30, v9, 0x78, vcc_lo
	v_cndmask_b32_e32 v7, v31, v7, vcc_lo
	v_add_nc_u32_e32 v9, 20, v30
	v_add_nc_u32_e32 v31, 19, v30
	s_delay_alu instid0(VALU_DEP_2) | instskip(NEXT) | instid1(VALU_DEP_1)
	v_lshlrev_b64 v[9:10], v9, -1
	v_not_b32_e32 v33, v9
	s_delay_alu instid0(VALU_DEP_2) | instskip(NEXT) | instid1(VALU_DEP_4)
	v_not_b32_e32 v32, v10
	v_lshlrev_b64 v[9:10], v31, 1
	s_delay_alu instid0(VALU_DEP_3) | instskip(SKIP_1) | instid1(VALU_DEP_4)
	v_and_b32_e32 v31, v7, v33
	v_lshrrev_b64 v[7:8], v30, v[7:8]
	v_and_b32_e32 v32, 0, v32
	s_delay_alu instid0(VALU_DEP_1) | instskip(NEXT) | instid1(VALU_DEP_3)
	v_cmp_eq_u64_e64 s0, v[31:32], v[9:10]
	v_dual_mov_b32 v10, v8 :: v_dual_mov_b32 v9, v7
	s_delay_alu instid0(VALU_DEP_2)
	s_and_saveexec_b32 s5, s0
; %bb.215:
	v_bfe_u32 v9, v7, 20, 1
	s_delay_alu instid0(VALU_DEP_1) | instskip(NEXT) | instid1(VALU_DEP_1)
	v_add_co_u32 v9, s0, v7, v9
	v_add_co_u32 v9, s0, v9, -1
; %bb.216:
	s_or_b32 exec_lo, exec_lo, s5
	v_add_nc_u32_e32 v10, 0xffffff81, v28
	v_lshrrev_b32_e32 v28, 23, v7
	s_delay_alu instid0(VALU_DEP_3) | instskip(SKIP_1) | instid1(VALU_DEP_3)
	v_and_b32_e32 v9, 0xfffff, v9
	s_mov_b32 s0, exec_lo
	v_cndmask_b32_e64 v10, v10, 0xffffff82, vcc_lo
	s_delay_alu instid0(VALU_DEP_2) | instskip(SKIP_1) | instid1(VALU_DEP_3)
	v_add_co_u32 v7, vcc_lo, v9, v7
	v_add_co_ci_u32_e32 v8, vcc_lo, 0, v8, vcc_lo
	v_add3_u32 v10, v30, v10, v28
                                        ; implicit-def: $vgpr9
	s_delay_alu instid0(VALU_DEP_1) | instskip(NEXT) | instid1(VALU_DEP_1)
	v_add_nc_u32_e32 v28, 6, v10
	v_cmpx_ne_u32_e32 0, v28
	s_xor_b32 s0, exec_lo, s0
; %bb.217:
	v_cmp_lt_u64_e32 vcc_lo, 0xffffff, v[7:8]
	v_add_nc_u32_e32 v9, 7, v10
	v_cndmask_b32_e64 v10, 0, 1, vcc_lo
	s_delay_alu instid0(VALU_DEP_2) | instskip(NEXT) | instid1(VALU_DEP_2)
	v_cndmask_b32_e32 v9, v28, v9, vcc_lo
	v_lshrrev_b64 v[7:8], v10, v[7:8]
; %bb.218:
	s_and_not1_saveexec_b32 s0, s0
; %bb.219:
	s_delay_alu instid0(VALU_DEP_1)
	v_bfe_u32 v9, v7, 23, 1
; %bb.220:
	s_or_b32 exec_lo, exec_lo, s0
	s_delay_alu instid0(VALU_DEP_2) | instskip(NEXT) | instid1(VALU_DEP_2)
	v_lshrrev_b64 v[7:8], 20, v[7:8]
	v_cmp_gt_i32_e32 vcc_lo, 16, v9
	v_cmp_ne_u32_e64 s0, 0, v9
                                        ; implicit-def: $vgpr28
	s_delay_alu instid0(VALU_DEP_3) | instskip(NEXT) | instid1(VALU_DEP_1)
	v_dual_cndmask_b32 v8, 0, v8 :: v_dual_cndmask_b32 v7, 7, v7
	v_cmp_ne_u64_e32 vcc_lo, 0, v[7:8]
	s_delay_alu instid0(VALU_DEP_3) | instskip(NEXT) | instid1(SALU_CYCLE_1)
	s_or_b32 s0, s0, vcc_lo
	s_and_saveexec_b32 s5, s0
	s_delay_alu instid0(SALU_CYCLE_1)
	s_xor_b32 s0, exec_lo, s5
; %bb.221:
	v_min_i32_e32 v8, 15, v9
	s_delay_alu instid0(VALU_DEP_1) | instskip(NEXT) | instid1(VALU_DEP_1)
	v_lshl_or_b32 v8, v8, 3, v29
                                        ; implicit-def: $vgpr29
	v_and_or_b32 v28, v7, 7, v8
; %bb.222:
	s_and_not1_saveexec_b32 s0, s0
; %bb.223:
	v_mov_b32_e32 v28, v29
; %bb.224:
	s_or_b32 exec_lo, exec_lo, s0
.LBB6_225:
	s_delay_alu instid0(SALU_CYCLE_1)
	s_or_b32 exec_lo, exec_lo, s4
.LBB6_226:
	s_and_not1_saveexec_b32 s0, s3
	s_delay_alu instid0(SALU_CYCLE_1)
	s_or_b32 exec_lo, exec_lo, s0
                                        ; implicit-def: $vgpr10
                                        ; implicit-def: $vgpr7_vgpr8
.LBB6_227:
	s_and_not1_saveexec_b32 s0, s2
; %bb.228:
	v_cmp_eq_u64_e32 vcc_lo, 0, v[7:8]
	v_or_b32_e32 v9, 0x7f, v10
	s_delay_alu instid0(VALU_DEP_1)
	v_cndmask_b32_e32 v28, v9, v28, vcc_lo
; %bb.229:
	s_or_b32 exec_lo, exec_lo, s0
	v_dual_mul_f32 v7, v14, v27 :: v_dual_mov_b32 v8, 0
	s_mov_b32 s0, 0xc3e00000
	s_delay_alu instid0(VALU_DEP_1) | instid1(SALU_CYCLE_1)
	v_maxmin_f32 v9, v7, s0, 0x43e00000
	s_mov_b32 s0, exec_lo
	s_delay_alu instid0(VALU_DEP_2) | instskip(NEXT) | instid1(VALU_DEP_2)
	v_mov_b32_e32 v31, v8
	v_lshrrev_b32_e32 v10, 24, v9
	v_and_b32_e32 v30, 0x7f800000, v9
	v_and_b32_e32 v7, 0x7fffff, v9
	s_delay_alu instid0(VALU_DEP_3) | instskip(NEXT) | instid1(VALU_DEP_1)
	v_and_b32_e32 v29, 0x80, v10
	v_or_b32_e32 v27, 0x7e, v29
	s_delay_alu instid0(VALU_DEP_4)
	v_cmpx_ne_u64_e32 0x7f800000, v[30:31]
	s_xor_b32 s2, exec_lo, s0
	s_cbranch_execz .LBB6_245
; %bb.230:
	v_dual_mov_b32 v31, v8 :: v_dual_and_b32 v30, 0x7fffffff, v9
	s_mov_b32 s0, exec_lo
	s_delay_alu instid0(VALU_DEP_1)
	v_cmpx_gt_u64_e32 0x43e00001, v[30:31]
	s_xor_b32 s3, exec_lo, s0
	s_cbranch_execz .LBB6_244
; %bb.231:
	v_mov_b32_e32 v27, 0
	s_mov_b32 s4, exec_lo
	v_cmpx_ne_u32_e32 0, v9
	s_cbranch_execz .LBB6_243
; %bb.232:
	v_bfe_u32 v27, v9, 23, 8
	v_or_b32_e32 v31, 0x800000, v7
	s_delay_alu instid0(VALU_DEP_2) | instskip(SKIP_1) | instid1(VALU_DEP_2)
	v_sub_nc_u32_e32 v9, 0x79, v27
	v_cmp_gt_u32_e32 vcc_lo, 0x7a, v27
	v_cndmask_b32_e32 v9, 0, v9, vcc_lo
	v_cmp_eq_u32_e32 vcc_lo, 0, v27
	s_delay_alu instid0(VALU_DEP_2) | instskip(SKIP_1) | instid1(VALU_DEP_2)
	v_cndmask_b32_e64 v30, v9, 0x78, vcc_lo
	v_cndmask_b32_e32 v7, v31, v7, vcc_lo
	v_add_nc_u32_e32 v9, 20, v30
	v_add_nc_u32_e32 v31, 19, v30
	s_delay_alu instid0(VALU_DEP_2) | instskip(NEXT) | instid1(VALU_DEP_1)
	v_lshlrev_b64 v[9:10], v9, -1
	v_not_b32_e32 v33, v9
	s_delay_alu instid0(VALU_DEP_2) | instskip(NEXT) | instid1(VALU_DEP_4)
	v_not_b32_e32 v32, v10
	v_lshlrev_b64 v[9:10], v31, 1
	s_delay_alu instid0(VALU_DEP_3) | instskip(SKIP_1) | instid1(VALU_DEP_4)
	v_and_b32_e32 v31, v7, v33
	v_lshrrev_b64 v[7:8], v30, v[7:8]
	v_and_b32_e32 v32, 0, v32
	s_delay_alu instid0(VALU_DEP_1) | instskip(NEXT) | instid1(VALU_DEP_3)
	v_cmp_eq_u64_e64 s0, v[31:32], v[9:10]
	v_dual_mov_b32 v10, v8 :: v_dual_mov_b32 v9, v7
	s_delay_alu instid0(VALU_DEP_2)
	s_and_saveexec_b32 s5, s0
; %bb.233:
	v_bfe_u32 v9, v7, 20, 1
	s_delay_alu instid0(VALU_DEP_1) | instskip(NEXT) | instid1(VALU_DEP_1)
	v_add_co_u32 v9, s0, v7, v9
	v_add_co_u32 v9, s0, v9, -1
; %bb.234:
	s_or_b32 exec_lo, exec_lo, s5
	v_add_nc_u32_e32 v10, 0xffffff81, v27
	v_lshrrev_b32_e32 v27, 23, v7
	s_delay_alu instid0(VALU_DEP_3) | instskip(SKIP_1) | instid1(VALU_DEP_3)
	v_and_b32_e32 v9, 0xfffff, v9
	s_mov_b32 s0, exec_lo
	v_cndmask_b32_e64 v10, v10, 0xffffff82, vcc_lo
	s_delay_alu instid0(VALU_DEP_2) | instskip(SKIP_1) | instid1(VALU_DEP_3)
	v_add_co_u32 v7, vcc_lo, v9, v7
	v_add_co_ci_u32_e32 v8, vcc_lo, 0, v8, vcc_lo
	v_add3_u32 v10, v30, v10, v27
                                        ; implicit-def: $vgpr9
	s_delay_alu instid0(VALU_DEP_1) | instskip(NEXT) | instid1(VALU_DEP_1)
	v_add_nc_u32_e32 v27, 6, v10
	v_cmpx_ne_u32_e32 0, v27
	s_xor_b32 s0, exec_lo, s0
; %bb.235:
	v_cmp_lt_u64_e32 vcc_lo, 0xffffff, v[7:8]
	v_add_nc_u32_e32 v9, 7, v10
	v_cndmask_b32_e64 v10, 0, 1, vcc_lo
	s_delay_alu instid0(VALU_DEP_2) | instskip(NEXT) | instid1(VALU_DEP_2)
	v_cndmask_b32_e32 v9, v27, v9, vcc_lo
	v_lshrrev_b64 v[7:8], v10, v[7:8]
; %bb.236:
	s_and_not1_saveexec_b32 s0, s0
; %bb.237:
	s_delay_alu instid0(VALU_DEP_1)
	v_bfe_u32 v9, v7, 23, 1
; %bb.238:
	s_or_b32 exec_lo, exec_lo, s0
	s_delay_alu instid0(VALU_DEP_2) | instskip(NEXT) | instid1(VALU_DEP_2)
	v_lshrrev_b64 v[7:8], 20, v[7:8]
	v_cmp_gt_i32_e32 vcc_lo, 16, v9
	v_cmp_ne_u32_e64 s0, 0, v9
                                        ; implicit-def: $vgpr27
	s_delay_alu instid0(VALU_DEP_3) | instskip(NEXT) | instid1(VALU_DEP_1)
	v_dual_cndmask_b32 v8, 0, v8 :: v_dual_cndmask_b32 v7, 7, v7
	v_cmp_ne_u64_e32 vcc_lo, 0, v[7:8]
	s_delay_alu instid0(VALU_DEP_3) | instskip(NEXT) | instid1(SALU_CYCLE_1)
	s_or_b32 s0, s0, vcc_lo
	s_and_saveexec_b32 s5, s0
	s_delay_alu instid0(SALU_CYCLE_1)
	s_xor_b32 s0, exec_lo, s5
; %bb.239:
	v_min_i32_e32 v8, 15, v9
	s_delay_alu instid0(VALU_DEP_1) | instskip(NEXT) | instid1(VALU_DEP_1)
	v_lshl_or_b32 v8, v8, 3, v29
                                        ; implicit-def: $vgpr29
	v_and_or_b32 v27, v7, 7, v8
; %bb.240:
	s_and_not1_saveexec_b32 s0, s0
; %bb.241:
	v_mov_b32_e32 v27, v29
; %bb.242:
	s_or_b32 exec_lo, exec_lo, s0
.LBB6_243:
	s_delay_alu instid0(SALU_CYCLE_1)
	s_or_b32 exec_lo, exec_lo, s4
.LBB6_244:
	s_and_not1_saveexec_b32 s0, s3
	s_delay_alu instid0(SALU_CYCLE_1)
	s_or_b32 exec_lo, exec_lo, s0
                                        ; implicit-def: $vgpr10
                                        ; implicit-def: $vgpr7_vgpr8
.LBB6_245:
	s_and_not1_saveexec_b32 s0, s2
; %bb.246:
	v_cmp_eq_u64_e32 vcc_lo, 0, v[7:8]
	v_or_b32_e32 v9, 0x7f, v10
	s_delay_alu instid0(VALU_DEP_1)
	v_cndmask_b32_e32 v27, v9, v27, vcc_lo
; %bb.247:
	s_or_b32 exec_lo, exec_lo, s0
	v_dual_mul_f32 v7, v14, v25 :: v_dual_mov_b32 v8, 0
	s_mov_b32 s0, 0xc3e00000
	s_delay_alu instid0(VALU_DEP_1) | instid1(SALU_CYCLE_1)
	v_maxmin_f32 v9, v7, s0, 0x43e00000
	s_mov_b32 s0, exec_lo
	s_delay_alu instid0(VALU_DEP_2) | instskip(NEXT) | instid1(VALU_DEP_2)
	v_mov_b32_e32 v31, v8
	v_lshrrev_b32_e32 v10, 24, v9
	v_and_b32_e32 v30, 0x7f800000, v9
	v_and_b32_e32 v7, 0x7fffff, v9
	s_delay_alu instid0(VALU_DEP_3) | instskip(NEXT) | instid1(VALU_DEP_1)
	v_and_b32_e32 v29, 0x80, v10
	v_or_b32_e32 v25, 0x7e, v29
	s_delay_alu instid0(VALU_DEP_4)
	v_cmpx_ne_u64_e32 0x7f800000, v[30:31]
	s_xor_b32 s2, exec_lo, s0
	s_cbranch_execz .LBB6_263
; %bb.248:
	v_dual_mov_b32 v31, v8 :: v_dual_and_b32 v30, 0x7fffffff, v9
	s_mov_b32 s0, exec_lo
	s_delay_alu instid0(VALU_DEP_1)
	v_cmpx_gt_u64_e32 0x43e00001, v[30:31]
	s_xor_b32 s3, exec_lo, s0
	s_cbranch_execz .LBB6_262
; %bb.249:
	v_mov_b32_e32 v25, 0
	s_mov_b32 s4, exec_lo
	v_cmpx_ne_u32_e32 0, v9
	s_cbranch_execz .LBB6_261
; %bb.250:
	v_bfe_u32 v25, v9, 23, 8
	v_or_b32_e32 v31, 0x800000, v7
	s_delay_alu instid0(VALU_DEP_2) | instskip(SKIP_1) | instid1(VALU_DEP_2)
	v_sub_nc_u32_e32 v9, 0x79, v25
	v_cmp_gt_u32_e32 vcc_lo, 0x7a, v25
	v_cndmask_b32_e32 v9, 0, v9, vcc_lo
	v_cmp_eq_u32_e32 vcc_lo, 0, v25
	s_delay_alu instid0(VALU_DEP_2) | instskip(SKIP_1) | instid1(VALU_DEP_2)
	v_cndmask_b32_e64 v30, v9, 0x78, vcc_lo
	v_cndmask_b32_e32 v7, v31, v7, vcc_lo
	v_add_nc_u32_e32 v9, 20, v30
	v_add_nc_u32_e32 v31, 19, v30
	s_delay_alu instid0(VALU_DEP_2) | instskip(NEXT) | instid1(VALU_DEP_1)
	v_lshlrev_b64 v[9:10], v9, -1
	v_not_b32_e32 v33, v9
	s_delay_alu instid0(VALU_DEP_2) | instskip(NEXT) | instid1(VALU_DEP_4)
	v_not_b32_e32 v32, v10
	v_lshlrev_b64 v[9:10], v31, 1
	s_delay_alu instid0(VALU_DEP_3) | instskip(SKIP_1) | instid1(VALU_DEP_4)
	v_and_b32_e32 v31, v7, v33
	v_lshrrev_b64 v[7:8], v30, v[7:8]
	v_and_b32_e32 v32, 0, v32
	s_delay_alu instid0(VALU_DEP_1) | instskip(NEXT) | instid1(VALU_DEP_3)
	v_cmp_eq_u64_e64 s0, v[31:32], v[9:10]
	v_dual_mov_b32 v10, v8 :: v_dual_mov_b32 v9, v7
	s_delay_alu instid0(VALU_DEP_2)
	s_and_saveexec_b32 s5, s0
; %bb.251:
	v_bfe_u32 v9, v7, 20, 1
	s_delay_alu instid0(VALU_DEP_1) | instskip(NEXT) | instid1(VALU_DEP_1)
	v_add_co_u32 v9, s0, v7, v9
	v_add_co_u32 v9, s0, v9, -1
; %bb.252:
	s_or_b32 exec_lo, exec_lo, s5
	v_add_nc_u32_e32 v10, 0xffffff81, v25
	v_lshrrev_b32_e32 v25, 23, v7
	s_delay_alu instid0(VALU_DEP_3) | instskip(SKIP_1) | instid1(VALU_DEP_3)
	v_and_b32_e32 v9, 0xfffff, v9
	s_mov_b32 s0, exec_lo
	v_cndmask_b32_e64 v10, v10, 0xffffff82, vcc_lo
	s_delay_alu instid0(VALU_DEP_2) | instskip(SKIP_1) | instid1(VALU_DEP_3)
	v_add_co_u32 v7, vcc_lo, v9, v7
	v_add_co_ci_u32_e32 v8, vcc_lo, 0, v8, vcc_lo
	v_add3_u32 v10, v30, v10, v25
                                        ; implicit-def: $vgpr9
	s_delay_alu instid0(VALU_DEP_1) | instskip(NEXT) | instid1(VALU_DEP_1)
	v_add_nc_u32_e32 v25, 6, v10
	v_cmpx_ne_u32_e32 0, v25
	s_xor_b32 s0, exec_lo, s0
; %bb.253:
	v_cmp_lt_u64_e32 vcc_lo, 0xffffff, v[7:8]
	v_add_nc_u32_e32 v9, 7, v10
	v_cndmask_b32_e64 v10, 0, 1, vcc_lo
	s_delay_alu instid0(VALU_DEP_2) | instskip(NEXT) | instid1(VALU_DEP_2)
	v_cndmask_b32_e32 v9, v25, v9, vcc_lo
	v_lshrrev_b64 v[7:8], v10, v[7:8]
; %bb.254:
	s_and_not1_saveexec_b32 s0, s0
; %bb.255:
	s_delay_alu instid0(VALU_DEP_1)
	v_bfe_u32 v9, v7, 23, 1
; %bb.256:
	s_or_b32 exec_lo, exec_lo, s0
	s_delay_alu instid0(VALU_DEP_2) | instskip(NEXT) | instid1(VALU_DEP_2)
	v_lshrrev_b64 v[7:8], 20, v[7:8]
	v_cmp_gt_i32_e32 vcc_lo, 16, v9
	v_cmp_ne_u32_e64 s0, 0, v9
                                        ; implicit-def: $vgpr25
	s_delay_alu instid0(VALU_DEP_3) | instskip(NEXT) | instid1(VALU_DEP_1)
	v_dual_cndmask_b32 v8, 0, v8 :: v_dual_cndmask_b32 v7, 7, v7
	v_cmp_ne_u64_e32 vcc_lo, 0, v[7:8]
	s_delay_alu instid0(VALU_DEP_3) | instskip(NEXT) | instid1(SALU_CYCLE_1)
	s_or_b32 s0, s0, vcc_lo
	s_and_saveexec_b32 s5, s0
	s_delay_alu instid0(SALU_CYCLE_1)
	s_xor_b32 s0, exec_lo, s5
; %bb.257:
	v_min_i32_e32 v8, 15, v9
	s_delay_alu instid0(VALU_DEP_1) | instskip(NEXT) | instid1(VALU_DEP_1)
	v_lshl_or_b32 v8, v8, 3, v29
                                        ; implicit-def: $vgpr29
	v_and_or_b32 v25, v7, 7, v8
; %bb.258:
	s_and_not1_saveexec_b32 s0, s0
; %bb.259:
	v_mov_b32_e32 v25, v29
; %bb.260:
	s_or_b32 exec_lo, exec_lo, s0
.LBB6_261:
	s_delay_alu instid0(SALU_CYCLE_1)
	s_or_b32 exec_lo, exec_lo, s4
.LBB6_262:
	s_and_not1_saveexec_b32 s0, s3
	s_delay_alu instid0(SALU_CYCLE_1)
	s_or_b32 exec_lo, exec_lo, s0
                                        ; implicit-def: $vgpr10
                                        ; implicit-def: $vgpr7_vgpr8
.LBB6_263:
	s_and_not1_saveexec_b32 s0, s2
; %bb.264:
	v_cmp_eq_u64_e32 vcc_lo, 0, v[7:8]
	v_or_b32_e32 v9, 0x7f, v10
	s_delay_alu instid0(VALU_DEP_1)
	v_cndmask_b32_e32 v25, v9, v25, vcc_lo
; %bb.265:
	s_or_b32 exec_lo, exec_lo, s0
	v_dual_mul_f32 v7, v14, v24 :: v_dual_mov_b32 v8, 0
	s_mov_b32 s0, 0xc3e00000
	s_delay_alu instid0(VALU_DEP_1) | instid1(SALU_CYCLE_1)
	v_maxmin_f32 v9, v7, s0, 0x43e00000
	s_mov_b32 s0, exec_lo
	s_delay_alu instid0(VALU_DEP_2) | instskip(NEXT) | instid1(VALU_DEP_2)
	v_mov_b32_e32 v31, v8
	v_lshrrev_b32_e32 v10, 24, v9
	v_and_b32_e32 v30, 0x7f800000, v9
	v_and_b32_e32 v7, 0x7fffff, v9
	s_delay_alu instid0(VALU_DEP_3) | instskip(NEXT) | instid1(VALU_DEP_1)
	v_and_b32_e32 v29, 0x80, v10
	v_or_b32_e32 v24, 0x7e, v29
	s_delay_alu instid0(VALU_DEP_4)
	v_cmpx_ne_u64_e32 0x7f800000, v[30:31]
	s_xor_b32 s2, exec_lo, s0
	s_cbranch_execz .LBB6_281
; %bb.266:
	v_dual_mov_b32 v31, v8 :: v_dual_and_b32 v30, 0x7fffffff, v9
	s_mov_b32 s0, exec_lo
	s_delay_alu instid0(VALU_DEP_1)
	v_cmpx_gt_u64_e32 0x43e00001, v[30:31]
	s_xor_b32 s3, exec_lo, s0
	s_cbranch_execz .LBB6_280
; %bb.267:
	v_mov_b32_e32 v24, 0
	s_mov_b32 s4, exec_lo
	v_cmpx_ne_u32_e32 0, v9
	s_cbranch_execz .LBB6_279
; %bb.268:
	v_bfe_u32 v24, v9, 23, 8
	v_or_b32_e32 v31, 0x800000, v7
	s_delay_alu instid0(VALU_DEP_2) | instskip(SKIP_1) | instid1(VALU_DEP_2)
	v_sub_nc_u32_e32 v9, 0x79, v24
	v_cmp_gt_u32_e32 vcc_lo, 0x7a, v24
	v_cndmask_b32_e32 v9, 0, v9, vcc_lo
	v_cmp_eq_u32_e32 vcc_lo, 0, v24
	s_delay_alu instid0(VALU_DEP_2) | instskip(SKIP_1) | instid1(VALU_DEP_2)
	v_cndmask_b32_e64 v30, v9, 0x78, vcc_lo
	v_cndmask_b32_e32 v7, v31, v7, vcc_lo
	v_add_nc_u32_e32 v9, 20, v30
	v_add_nc_u32_e32 v31, 19, v30
	s_delay_alu instid0(VALU_DEP_2) | instskip(NEXT) | instid1(VALU_DEP_1)
	v_lshlrev_b64 v[9:10], v9, -1
	v_not_b32_e32 v33, v9
	s_delay_alu instid0(VALU_DEP_2) | instskip(NEXT) | instid1(VALU_DEP_4)
	v_not_b32_e32 v32, v10
	v_lshlrev_b64 v[9:10], v31, 1
	s_delay_alu instid0(VALU_DEP_3) | instskip(SKIP_1) | instid1(VALU_DEP_4)
	v_and_b32_e32 v31, v7, v33
	v_lshrrev_b64 v[7:8], v30, v[7:8]
	v_and_b32_e32 v32, 0, v32
	s_delay_alu instid0(VALU_DEP_1) | instskip(NEXT) | instid1(VALU_DEP_3)
	v_cmp_eq_u64_e64 s0, v[31:32], v[9:10]
	v_dual_mov_b32 v10, v8 :: v_dual_mov_b32 v9, v7
	s_delay_alu instid0(VALU_DEP_2)
	s_and_saveexec_b32 s5, s0
; %bb.269:
	v_bfe_u32 v9, v7, 20, 1
	s_delay_alu instid0(VALU_DEP_1) | instskip(NEXT) | instid1(VALU_DEP_1)
	v_add_co_u32 v9, s0, v7, v9
	v_add_co_u32 v9, s0, v9, -1
; %bb.270:
	s_or_b32 exec_lo, exec_lo, s5
	v_add_nc_u32_e32 v10, 0xffffff81, v24
	v_lshrrev_b32_e32 v24, 23, v7
	s_delay_alu instid0(VALU_DEP_3) | instskip(SKIP_1) | instid1(VALU_DEP_3)
	v_and_b32_e32 v9, 0xfffff, v9
	s_mov_b32 s0, exec_lo
	v_cndmask_b32_e64 v10, v10, 0xffffff82, vcc_lo
	s_delay_alu instid0(VALU_DEP_2) | instskip(SKIP_1) | instid1(VALU_DEP_3)
	v_add_co_u32 v7, vcc_lo, v9, v7
	v_add_co_ci_u32_e32 v8, vcc_lo, 0, v8, vcc_lo
	v_add3_u32 v10, v30, v10, v24
                                        ; implicit-def: $vgpr9
	s_delay_alu instid0(VALU_DEP_1) | instskip(NEXT) | instid1(VALU_DEP_1)
	v_add_nc_u32_e32 v24, 6, v10
	v_cmpx_ne_u32_e32 0, v24
	s_xor_b32 s0, exec_lo, s0
; %bb.271:
	v_cmp_lt_u64_e32 vcc_lo, 0xffffff, v[7:8]
	v_add_nc_u32_e32 v9, 7, v10
	v_cndmask_b32_e64 v10, 0, 1, vcc_lo
	s_delay_alu instid0(VALU_DEP_2) | instskip(NEXT) | instid1(VALU_DEP_2)
	v_cndmask_b32_e32 v9, v24, v9, vcc_lo
	v_lshrrev_b64 v[7:8], v10, v[7:8]
; %bb.272:
	s_and_not1_saveexec_b32 s0, s0
; %bb.273:
	s_delay_alu instid0(VALU_DEP_1)
	v_bfe_u32 v9, v7, 23, 1
; %bb.274:
	s_or_b32 exec_lo, exec_lo, s0
	s_delay_alu instid0(VALU_DEP_2) | instskip(NEXT) | instid1(VALU_DEP_2)
	v_lshrrev_b64 v[7:8], 20, v[7:8]
	v_cmp_gt_i32_e32 vcc_lo, 16, v9
	v_cmp_ne_u32_e64 s0, 0, v9
                                        ; implicit-def: $vgpr24
	s_delay_alu instid0(VALU_DEP_3) | instskip(NEXT) | instid1(VALU_DEP_1)
	v_dual_cndmask_b32 v8, 0, v8 :: v_dual_cndmask_b32 v7, 7, v7
	v_cmp_ne_u64_e32 vcc_lo, 0, v[7:8]
	s_delay_alu instid0(VALU_DEP_3) | instskip(NEXT) | instid1(SALU_CYCLE_1)
	s_or_b32 s0, s0, vcc_lo
	s_and_saveexec_b32 s5, s0
	s_delay_alu instid0(SALU_CYCLE_1)
	s_xor_b32 s0, exec_lo, s5
; %bb.275:
	v_min_i32_e32 v8, 15, v9
	s_delay_alu instid0(VALU_DEP_1) | instskip(NEXT) | instid1(VALU_DEP_1)
	v_lshl_or_b32 v8, v8, 3, v29
                                        ; implicit-def: $vgpr29
	v_and_or_b32 v24, v7, 7, v8
; %bb.276:
	s_and_not1_saveexec_b32 s0, s0
; %bb.277:
	v_mov_b32_e32 v24, v29
; %bb.278:
	s_or_b32 exec_lo, exec_lo, s0
.LBB6_279:
	s_delay_alu instid0(SALU_CYCLE_1)
	s_or_b32 exec_lo, exec_lo, s4
.LBB6_280:
	s_and_not1_saveexec_b32 s0, s3
	s_delay_alu instid0(SALU_CYCLE_1)
	s_or_b32 exec_lo, exec_lo, s0
                                        ; implicit-def: $vgpr10
                                        ; implicit-def: $vgpr7_vgpr8
.LBB6_281:
	s_and_not1_saveexec_b32 s0, s2
; %bb.282:
	v_cmp_eq_u64_e32 vcc_lo, 0, v[7:8]
	v_or_b32_e32 v9, 0x7f, v10
	s_delay_alu instid0(VALU_DEP_1)
	v_cndmask_b32_e32 v24, v9, v24, vcc_lo
; %bb.283:
	s_or_b32 exec_lo, exec_lo, s0
	v_dual_mul_f32 v7, v14, v23 :: v_dual_mov_b32 v8, 0
	s_mov_b32 s0, 0xc3e00000
	s_delay_alu instid0(VALU_DEP_1) | instid1(SALU_CYCLE_1)
	v_maxmin_f32 v9, v7, s0, 0x43e00000
	s_mov_b32 s0, exec_lo
	s_delay_alu instid0(VALU_DEP_2) | instskip(NEXT) | instid1(VALU_DEP_2)
	v_mov_b32_e32 v31, v8
	v_lshrrev_b32_e32 v10, 24, v9
	v_and_b32_e32 v30, 0x7f800000, v9
	v_and_b32_e32 v7, 0x7fffff, v9
	s_delay_alu instid0(VALU_DEP_3) | instskip(NEXT) | instid1(VALU_DEP_1)
	v_and_b32_e32 v29, 0x80, v10
	v_or_b32_e32 v23, 0x7e, v29
	s_delay_alu instid0(VALU_DEP_4)
	v_cmpx_ne_u64_e32 0x7f800000, v[30:31]
	s_xor_b32 s2, exec_lo, s0
	s_cbranch_execz .LBB6_299
; %bb.284:
	v_dual_mov_b32 v31, v8 :: v_dual_and_b32 v30, 0x7fffffff, v9
	s_mov_b32 s0, exec_lo
	s_delay_alu instid0(VALU_DEP_1)
	v_cmpx_gt_u64_e32 0x43e00001, v[30:31]
	s_xor_b32 s3, exec_lo, s0
	s_cbranch_execz .LBB6_298
; %bb.285:
	v_mov_b32_e32 v23, 0
	s_mov_b32 s4, exec_lo
	v_cmpx_ne_u32_e32 0, v9
	s_cbranch_execz .LBB6_297
; %bb.286:
	v_bfe_u32 v23, v9, 23, 8
	v_or_b32_e32 v31, 0x800000, v7
	s_delay_alu instid0(VALU_DEP_2) | instskip(SKIP_1) | instid1(VALU_DEP_2)
	v_sub_nc_u32_e32 v9, 0x79, v23
	v_cmp_gt_u32_e32 vcc_lo, 0x7a, v23
	v_cndmask_b32_e32 v9, 0, v9, vcc_lo
	v_cmp_eq_u32_e32 vcc_lo, 0, v23
	s_delay_alu instid0(VALU_DEP_2) | instskip(SKIP_1) | instid1(VALU_DEP_2)
	v_cndmask_b32_e64 v30, v9, 0x78, vcc_lo
	v_cndmask_b32_e32 v7, v31, v7, vcc_lo
	v_add_nc_u32_e32 v9, 20, v30
	v_add_nc_u32_e32 v31, 19, v30
	s_delay_alu instid0(VALU_DEP_2) | instskip(NEXT) | instid1(VALU_DEP_1)
	v_lshlrev_b64 v[9:10], v9, -1
	v_not_b32_e32 v33, v9
	s_delay_alu instid0(VALU_DEP_2) | instskip(NEXT) | instid1(VALU_DEP_4)
	v_not_b32_e32 v32, v10
	v_lshlrev_b64 v[9:10], v31, 1
	s_delay_alu instid0(VALU_DEP_3) | instskip(SKIP_1) | instid1(VALU_DEP_4)
	v_and_b32_e32 v31, v7, v33
	v_lshrrev_b64 v[7:8], v30, v[7:8]
	v_and_b32_e32 v32, 0, v32
	s_delay_alu instid0(VALU_DEP_1) | instskip(NEXT) | instid1(VALU_DEP_3)
	v_cmp_eq_u64_e64 s0, v[31:32], v[9:10]
	v_dual_mov_b32 v10, v8 :: v_dual_mov_b32 v9, v7
	s_delay_alu instid0(VALU_DEP_2)
	s_and_saveexec_b32 s5, s0
; %bb.287:
	v_bfe_u32 v9, v7, 20, 1
	s_delay_alu instid0(VALU_DEP_1) | instskip(NEXT) | instid1(VALU_DEP_1)
	v_add_co_u32 v9, s0, v7, v9
	v_add_co_u32 v9, s0, v9, -1
; %bb.288:
	s_or_b32 exec_lo, exec_lo, s5
	v_add_nc_u32_e32 v10, 0xffffff81, v23
	v_lshrrev_b32_e32 v23, 23, v7
	s_delay_alu instid0(VALU_DEP_3) | instskip(SKIP_1) | instid1(VALU_DEP_3)
	v_and_b32_e32 v9, 0xfffff, v9
	s_mov_b32 s0, exec_lo
	v_cndmask_b32_e64 v10, v10, 0xffffff82, vcc_lo
	s_delay_alu instid0(VALU_DEP_2) | instskip(SKIP_1) | instid1(VALU_DEP_3)
	v_add_co_u32 v7, vcc_lo, v9, v7
	v_add_co_ci_u32_e32 v8, vcc_lo, 0, v8, vcc_lo
	v_add3_u32 v10, v30, v10, v23
                                        ; implicit-def: $vgpr9
	s_delay_alu instid0(VALU_DEP_1) | instskip(NEXT) | instid1(VALU_DEP_1)
	v_add_nc_u32_e32 v23, 6, v10
	v_cmpx_ne_u32_e32 0, v23
	s_xor_b32 s0, exec_lo, s0
; %bb.289:
	v_cmp_lt_u64_e32 vcc_lo, 0xffffff, v[7:8]
	v_add_nc_u32_e32 v9, 7, v10
	v_cndmask_b32_e64 v10, 0, 1, vcc_lo
	s_delay_alu instid0(VALU_DEP_2) | instskip(NEXT) | instid1(VALU_DEP_2)
	v_cndmask_b32_e32 v9, v23, v9, vcc_lo
	v_lshrrev_b64 v[7:8], v10, v[7:8]
; %bb.290:
	s_and_not1_saveexec_b32 s0, s0
; %bb.291:
	s_delay_alu instid0(VALU_DEP_1)
	v_bfe_u32 v9, v7, 23, 1
; %bb.292:
	s_or_b32 exec_lo, exec_lo, s0
	s_delay_alu instid0(VALU_DEP_2) | instskip(NEXT) | instid1(VALU_DEP_2)
	v_lshrrev_b64 v[7:8], 20, v[7:8]
	v_cmp_gt_i32_e32 vcc_lo, 16, v9
	v_cmp_ne_u32_e64 s0, 0, v9
                                        ; implicit-def: $vgpr23
	s_delay_alu instid0(VALU_DEP_3) | instskip(NEXT) | instid1(VALU_DEP_1)
	v_dual_cndmask_b32 v8, 0, v8 :: v_dual_cndmask_b32 v7, 7, v7
	v_cmp_ne_u64_e32 vcc_lo, 0, v[7:8]
	s_delay_alu instid0(VALU_DEP_3) | instskip(NEXT) | instid1(SALU_CYCLE_1)
	s_or_b32 s0, s0, vcc_lo
	s_and_saveexec_b32 s5, s0
	s_delay_alu instid0(SALU_CYCLE_1)
	s_xor_b32 s0, exec_lo, s5
; %bb.293:
	v_min_i32_e32 v8, 15, v9
	s_delay_alu instid0(VALU_DEP_1) | instskip(NEXT) | instid1(VALU_DEP_1)
	v_lshl_or_b32 v8, v8, 3, v29
                                        ; implicit-def: $vgpr29
	v_and_or_b32 v23, v7, 7, v8
; %bb.294:
	s_and_not1_saveexec_b32 s0, s0
; %bb.295:
	v_mov_b32_e32 v23, v29
; %bb.296:
	s_or_b32 exec_lo, exec_lo, s0
.LBB6_297:
	s_delay_alu instid0(SALU_CYCLE_1)
	s_or_b32 exec_lo, exec_lo, s4
.LBB6_298:
	s_and_not1_saveexec_b32 s0, s3
	s_delay_alu instid0(SALU_CYCLE_1)
	s_or_b32 exec_lo, exec_lo, s0
                                        ; implicit-def: $vgpr10
                                        ; implicit-def: $vgpr7_vgpr8
.LBB6_299:
	s_and_not1_saveexec_b32 s0, s2
; %bb.300:
	v_cmp_eq_u64_e32 vcc_lo, 0, v[7:8]
	v_or_b32_e32 v9, 0x7f, v10
	s_delay_alu instid0(VALU_DEP_1)
	v_cndmask_b32_e32 v23, v9, v23, vcc_lo
; %bb.301:
	s_or_b32 exec_lo, exec_lo, s0
	v_dual_mul_f32 v7, v14, v22 :: v_dual_mov_b32 v8, 0
	s_mov_b32 s0, 0xc3e00000
	s_delay_alu instid0(VALU_DEP_1) | instid1(SALU_CYCLE_1)
	v_maxmin_f32 v9, v7, s0, 0x43e00000
	s_mov_b32 s0, exec_lo
	s_delay_alu instid0(VALU_DEP_2) | instskip(NEXT) | instid1(VALU_DEP_2)
	v_mov_b32_e32 v31, v8
	v_lshrrev_b32_e32 v10, 24, v9
	v_and_b32_e32 v30, 0x7f800000, v9
	v_and_b32_e32 v7, 0x7fffff, v9
	s_delay_alu instid0(VALU_DEP_3) | instskip(NEXT) | instid1(VALU_DEP_1)
	v_and_b32_e32 v29, 0x80, v10
	v_or_b32_e32 v22, 0x7e, v29
	s_delay_alu instid0(VALU_DEP_4)
	v_cmpx_ne_u64_e32 0x7f800000, v[30:31]
	s_xor_b32 s2, exec_lo, s0
	s_cbranch_execz .LBB6_317
; %bb.302:
	v_dual_mov_b32 v31, v8 :: v_dual_and_b32 v30, 0x7fffffff, v9
	s_mov_b32 s0, exec_lo
	s_delay_alu instid0(VALU_DEP_1)
	v_cmpx_gt_u64_e32 0x43e00001, v[30:31]
	s_xor_b32 s3, exec_lo, s0
	s_cbranch_execz .LBB6_316
; %bb.303:
	v_mov_b32_e32 v22, 0
	s_mov_b32 s4, exec_lo
	v_cmpx_ne_u32_e32 0, v9
	s_cbranch_execz .LBB6_315
; %bb.304:
	v_bfe_u32 v22, v9, 23, 8
	v_or_b32_e32 v31, 0x800000, v7
	s_delay_alu instid0(VALU_DEP_2) | instskip(SKIP_1) | instid1(VALU_DEP_2)
	v_sub_nc_u32_e32 v9, 0x79, v22
	v_cmp_gt_u32_e32 vcc_lo, 0x7a, v22
	v_cndmask_b32_e32 v9, 0, v9, vcc_lo
	v_cmp_eq_u32_e32 vcc_lo, 0, v22
	s_delay_alu instid0(VALU_DEP_2) | instskip(SKIP_1) | instid1(VALU_DEP_2)
	v_cndmask_b32_e64 v30, v9, 0x78, vcc_lo
	v_cndmask_b32_e32 v7, v31, v7, vcc_lo
	v_add_nc_u32_e32 v9, 20, v30
	v_add_nc_u32_e32 v31, 19, v30
	s_delay_alu instid0(VALU_DEP_2) | instskip(NEXT) | instid1(VALU_DEP_1)
	v_lshlrev_b64 v[9:10], v9, -1
	v_not_b32_e32 v33, v9
	s_delay_alu instid0(VALU_DEP_2) | instskip(NEXT) | instid1(VALU_DEP_4)
	v_not_b32_e32 v32, v10
	v_lshlrev_b64 v[9:10], v31, 1
	s_delay_alu instid0(VALU_DEP_3) | instskip(SKIP_1) | instid1(VALU_DEP_4)
	v_and_b32_e32 v31, v7, v33
	v_lshrrev_b64 v[7:8], v30, v[7:8]
	v_and_b32_e32 v32, 0, v32
	s_delay_alu instid0(VALU_DEP_1) | instskip(NEXT) | instid1(VALU_DEP_3)
	v_cmp_eq_u64_e64 s0, v[31:32], v[9:10]
	v_dual_mov_b32 v10, v8 :: v_dual_mov_b32 v9, v7
	s_delay_alu instid0(VALU_DEP_2)
	s_and_saveexec_b32 s5, s0
; %bb.305:
	v_bfe_u32 v9, v7, 20, 1
	s_delay_alu instid0(VALU_DEP_1) | instskip(NEXT) | instid1(VALU_DEP_1)
	v_add_co_u32 v9, s0, v7, v9
	v_add_co_u32 v9, s0, v9, -1
; %bb.306:
	s_or_b32 exec_lo, exec_lo, s5
	v_add_nc_u32_e32 v10, 0xffffff81, v22
	v_lshrrev_b32_e32 v22, 23, v7
	s_delay_alu instid0(VALU_DEP_3) | instskip(SKIP_1) | instid1(VALU_DEP_3)
	v_and_b32_e32 v9, 0xfffff, v9
	s_mov_b32 s0, exec_lo
	v_cndmask_b32_e64 v10, v10, 0xffffff82, vcc_lo
	s_delay_alu instid0(VALU_DEP_2) | instskip(SKIP_1) | instid1(VALU_DEP_3)
	v_add_co_u32 v7, vcc_lo, v9, v7
	v_add_co_ci_u32_e32 v8, vcc_lo, 0, v8, vcc_lo
	v_add3_u32 v10, v30, v10, v22
                                        ; implicit-def: $vgpr9
	s_delay_alu instid0(VALU_DEP_1) | instskip(NEXT) | instid1(VALU_DEP_1)
	v_add_nc_u32_e32 v22, 6, v10
	v_cmpx_ne_u32_e32 0, v22
	s_xor_b32 s0, exec_lo, s0
; %bb.307:
	v_cmp_lt_u64_e32 vcc_lo, 0xffffff, v[7:8]
	v_add_nc_u32_e32 v9, 7, v10
	v_cndmask_b32_e64 v10, 0, 1, vcc_lo
	s_delay_alu instid0(VALU_DEP_2) | instskip(NEXT) | instid1(VALU_DEP_2)
	v_cndmask_b32_e32 v9, v22, v9, vcc_lo
	v_lshrrev_b64 v[7:8], v10, v[7:8]
; %bb.308:
	s_and_not1_saveexec_b32 s0, s0
; %bb.309:
	s_delay_alu instid0(VALU_DEP_1)
	v_bfe_u32 v9, v7, 23, 1
; %bb.310:
	s_or_b32 exec_lo, exec_lo, s0
	s_delay_alu instid0(VALU_DEP_2) | instskip(NEXT) | instid1(VALU_DEP_2)
	v_lshrrev_b64 v[7:8], 20, v[7:8]
	v_cmp_gt_i32_e32 vcc_lo, 16, v9
	v_cmp_ne_u32_e64 s0, 0, v9
                                        ; implicit-def: $vgpr22
	s_delay_alu instid0(VALU_DEP_3) | instskip(NEXT) | instid1(VALU_DEP_1)
	v_dual_cndmask_b32 v8, 0, v8 :: v_dual_cndmask_b32 v7, 7, v7
	v_cmp_ne_u64_e32 vcc_lo, 0, v[7:8]
	s_delay_alu instid0(VALU_DEP_3) | instskip(NEXT) | instid1(SALU_CYCLE_1)
	s_or_b32 s0, s0, vcc_lo
	s_and_saveexec_b32 s5, s0
	s_delay_alu instid0(SALU_CYCLE_1)
	s_xor_b32 s0, exec_lo, s5
; %bb.311:
	v_min_i32_e32 v8, 15, v9
	s_delay_alu instid0(VALU_DEP_1) | instskip(NEXT) | instid1(VALU_DEP_1)
	v_lshl_or_b32 v8, v8, 3, v29
                                        ; implicit-def: $vgpr29
	v_and_or_b32 v22, v7, 7, v8
; %bb.312:
	s_and_not1_saveexec_b32 s0, s0
; %bb.313:
	v_mov_b32_e32 v22, v29
; %bb.314:
	s_or_b32 exec_lo, exec_lo, s0
.LBB6_315:
	s_delay_alu instid0(SALU_CYCLE_1)
	s_or_b32 exec_lo, exec_lo, s4
.LBB6_316:
	s_and_not1_saveexec_b32 s0, s3
	s_delay_alu instid0(SALU_CYCLE_1)
	s_or_b32 exec_lo, exec_lo, s0
                                        ; implicit-def: $vgpr10
                                        ; implicit-def: $vgpr7_vgpr8
.LBB6_317:
	s_and_not1_saveexec_b32 s0, s2
; %bb.318:
	v_cmp_eq_u64_e32 vcc_lo, 0, v[7:8]
	v_or_b32_e32 v9, 0x7f, v10
	s_delay_alu instid0(VALU_DEP_1)
	v_cndmask_b32_e32 v22, v9, v22, vcc_lo
; %bb.319:
	s_or_b32 exec_lo, exec_lo, s0
	v_dual_mul_f32 v7, v14, v21 :: v_dual_mov_b32 v8, 0
	s_mov_b32 s0, 0xc3e00000
	s_delay_alu instid0(VALU_DEP_1) | instid1(SALU_CYCLE_1)
	v_maxmin_f32 v9, v7, s0, 0x43e00000
	s_mov_b32 s0, exec_lo
	s_delay_alu instid0(VALU_DEP_2) | instskip(NEXT) | instid1(VALU_DEP_2)
	v_mov_b32_e32 v31, v8
	v_lshrrev_b32_e32 v10, 24, v9
	v_and_b32_e32 v30, 0x7f800000, v9
	v_and_b32_e32 v7, 0x7fffff, v9
	s_delay_alu instid0(VALU_DEP_3) | instskip(NEXT) | instid1(VALU_DEP_1)
	v_and_b32_e32 v29, 0x80, v10
	v_or_b32_e32 v21, 0x7e, v29
	s_delay_alu instid0(VALU_DEP_4)
	v_cmpx_ne_u64_e32 0x7f800000, v[30:31]
	s_xor_b32 s2, exec_lo, s0
	s_cbranch_execz .LBB6_335
; %bb.320:
	v_dual_mov_b32 v31, v8 :: v_dual_and_b32 v30, 0x7fffffff, v9
	s_mov_b32 s0, exec_lo
	s_delay_alu instid0(VALU_DEP_1)
	v_cmpx_gt_u64_e32 0x43e00001, v[30:31]
	s_xor_b32 s3, exec_lo, s0
	s_cbranch_execz .LBB6_334
; %bb.321:
	v_mov_b32_e32 v21, 0
	s_mov_b32 s4, exec_lo
	v_cmpx_ne_u32_e32 0, v9
	s_cbranch_execz .LBB6_333
; %bb.322:
	v_bfe_u32 v21, v9, 23, 8
	v_or_b32_e32 v31, 0x800000, v7
	s_delay_alu instid0(VALU_DEP_2) | instskip(SKIP_1) | instid1(VALU_DEP_2)
	v_sub_nc_u32_e32 v9, 0x79, v21
	v_cmp_gt_u32_e32 vcc_lo, 0x7a, v21
	v_cndmask_b32_e32 v9, 0, v9, vcc_lo
	v_cmp_eq_u32_e32 vcc_lo, 0, v21
	s_delay_alu instid0(VALU_DEP_2) | instskip(SKIP_1) | instid1(VALU_DEP_2)
	v_cndmask_b32_e64 v30, v9, 0x78, vcc_lo
	v_cndmask_b32_e32 v7, v31, v7, vcc_lo
	v_add_nc_u32_e32 v9, 20, v30
	v_add_nc_u32_e32 v31, 19, v30
	s_delay_alu instid0(VALU_DEP_2) | instskip(NEXT) | instid1(VALU_DEP_1)
	v_lshlrev_b64 v[9:10], v9, -1
	v_not_b32_e32 v33, v9
	s_delay_alu instid0(VALU_DEP_2) | instskip(NEXT) | instid1(VALU_DEP_4)
	v_not_b32_e32 v32, v10
	v_lshlrev_b64 v[9:10], v31, 1
	s_delay_alu instid0(VALU_DEP_3) | instskip(SKIP_1) | instid1(VALU_DEP_4)
	v_and_b32_e32 v31, v7, v33
	v_lshrrev_b64 v[7:8], v30, v[7:8]
	v_and_b32_e32 v32, 0, v32
	s_delay_alu instid0(VALU_DEP_1) | instskip(NEXT) | instid1(VALU_DEP_3)
	v_cmp_eq_u64_e64 s0, v[31:32], v[9:10]
	v_dual_mov_b32 v10, v8 :: v_dual_mov_b32 v9, v7
	s_delay_alu instid0(VALU_DEP_2)
	s_and_saveexec_b32 s5, s0
; %bb.323:
	v_bfe_u32 v9, v7, 20, 1
	s_delay_alu instid0(VALU_DEP_1) | instskip(NEXT) | instid1(VALU_DEP_1)
	v_add_co_u32 v9, s0, v7, v9
	v_add_co_u32 v9, s0, v9, -1
; %bb.324:
	s_or_b32 exec_lo, exec_lo, s5
	v_add_nc_u32_e32 v10, 0xffffff81, v21
	v_lshrrev_b32_e32 v21, 23, v7
	s_delay_alu instid0(VALU_DEP_3) | instskip(SKIP_1) | instid1(VALU_DEP_3)
	v_and_b32_e32 v9, 0xfffff, v9
	s_mov_b32 s0, exec_lo
	v_cndmask_b32_e64 v10, v10, 0xffffff82, vcc_lo
	s_delay_alu instid0(VALU_DEP_2) | instskip(SKIP_1) | instid1(VALU_DEP_3)
	v_add_co_u32 v7, vcc_lo, v9, v7
	v_add_co_ci_u32_e32 v8, vcc_lo, 0, v8, vcc_lo
	v_add3_u32 v10, v30, v10, v21
                                        ; implicit-def: $vgpr9
	s_delay_alu instid0(VALU_DEP_1) | instskip(NEXT) | instid1(VALU_DEP_1)
	v_add_nc_u32_e32 v21, 6, v10
	v_cmpx_ne_u32_e32 0, v21
	s_xor_b32 s0, exec_lo, s0
; %bb.325:
	v_cmp_lt_u64_e32 vcc_lo, 0xffffff, v[7:8]
	v_add_nc_u32_e32 v9, 7, v10
	v_cndmask_b32_e64 v10, 0, 1, vcc_lo
	s_delay_alu instid0(VALU_DEP_2) | instskip(NEXT) | instid1(VALU_DEP_2)
	v_cndmask_b32_e32 v9, v21, v9, vcc_lo
	v_lshrrev_b64 v[7:8], v10, v[7:8]
; %bb.326:
	s_and_not1_saveexec_b32 s0, s0
; %bb.327:
	s_delay_alu instid0(VALU_DEP_1)
	v_bfe_u32 v9, v7, 23, 1
; %bb.328:
	s_or_b32 exec_lo, exec_lo, s0
	s_delay_alu instid0(VALU_DEP_2) | instskip(NEXT) | instid1(VALU_DEP_2)
	v_lshrrev_b64 v[7:8], 20, v[7:8]
	v_cmp_gt_i32_e32 vcc_lo, 16, v9
	v_cmp_ne_u32_e64 s0, 0, v9
                                        ; implicit-def: $vgpr21
	s_delay_alu instid0(VALU_DEP_3) | instskip(NEXT) | instid1(VALU_DEP_1)
	v_dual_cndmask_b32 v8, 0, v8 :: v_dual_cndmask_b32 v7, 7, v7
	v_cmp_ne_u64_e32 vcc_lo, 0, v[7:8]
	s_delay_alu instid0(VALU_DEP_3) | instskip(NEXT) | instid1(SALU_CYCLE_1)
	s_or_b32 s0, s0, vcc_lo
	s_and_saveexec_b32 s5, s0
	s_delay_alu instid0(SALU_CYCLE_1)
	s_xor_b32 s0, exec_lo, s5
; %bb.329:
	v_min_i32_e32 v8, 15, v9
	s_delay_alu instid0(VALU_DEP_1) | instskip(NEXT) | instid1(VALU_DEP_1)
	v_lshl_or_b32 v8, v8, 3, v29
                                        ; implicit-def: $vgpr29
	v_and_or_b32 v21, v7, 7, v8
; %bb.330:
	s_and_not1_saveexec_b32 s0, s0
; %bb.331:
	v_mov_b32_e32 v21, v29
; %bb.332:
	s_or_b32 exec_lo, exec_lo, s0
.LBB6_333:
	s_delay_alu instid0(SALU_CYCLE_1)
	s_or_b32 exec_lo, exec_lo, s4
.LBB6_334:
	s_and_not1_saveexec_b32 s0, s3
	s_delay_alu instid0(SALU_CYCLE_1)
	s_or_b32 exec_lo, exec_lo, s0
                                        ; implicit-def: $vgpr10
                                        ; implicit-def: $vgpr7_vgpr8
.LBB6_335:
	s_and_not1_saveexec_b32 s0, s2
; %bb.336:
	v_cmp_eq_u64_e32 vcc_lo, 0, v[7:8]
	v_or_b32_e32 v9, 0x7f, v10
	s_delay_alu instid0(VALU_DEP_1)
	v_cndmask_b32_e32 v21, v9, v21, vcc_lo
; %bb.337:
	s_or_b32 exec_lo, exec_lo, s0
	v_dual_mul_f32 v7, v14, v16 :: v_dual_mov_b32 v8, 0
	s_mov_b32 s0, 0xc3e00000
	s_delay_alu instid0(VALU_DEP_1) | instid1(SALU_CYCLE_1)
	v_maxmin_f32 v9, v7, s0, 0x43e00000
	s_mov_b32 s0, exec_lo
	s_delay_alu instid0(VALU_DEP_2) | instskip(NEXT) | instid1(VALU_DEP_2)
	v_mov_b32_e32 v31, v8
	v_lshrrev_b32_e32 v10, 24, v9
	v_and_b32_e32 v30, 0x7f800000, v9
	v_and_b32_e32 v7, 0x7fffff, v9
	s_delay_alu instid0(VALU_DEP_3) | instskip(NEXT) | instid1(VALU_DEP_1)
	v_and_b32_e32 v29, 0x80, v10
	v_or_b32_e32 v16, 0x7e, v29
	s_delay_alu instid0(VALU_DEP_4)
	v_cmpx_ne_u64_e32 0x7f800000, v[30:31]
	s_xor_b32 s2, exec_lo, s0
	s_cbranch_execz .LBB6_353
; %bb.338:
	v_dual_mov_b32 v31, v8 :: v_dual_and_b32 v30, 0x7fffffff, v9
	s_mov_b32 s0, exec_lo
	s_delay_alu instid0(VALU_DEP_1)
	v_cmpx_gt_u64_e32 0x43e00001, v[30:31]
	s_xor_b32 s3, exec_lo, s0
	s_cbranch_execz .LBB6_352
; %bb.339:
	v_mov_b32_e32 v16, 0
	s_mov_b32 s4, exec_lo
	v_cmpx_ne_u32_e32 0, v9
	s_cbranch_execz .LBB6_351
; %bb.340:
	v_bfe_u32 v16, v9, 23, 8
	v_or_b32_e32 v31, 0x800000, v7
	s_delay_alu instid0(VALU_DEP_2) | instskip(SKIP_1) | instid1(VALU_DEP_2)
	v_sub_nc_u32_e32 v9, 0x79, v16
	v_cmp_gt_u32_e32 vcc_lo, 0x7a, v16
	v_cndmask_b32_e32 v9, 0, v9, vcc_lo
	v_cmp_eq_u32_e32 vcc_lo, 0, v16
	s_delay_alu instid0(VALU_DEP_2) | instskip(SKIP_1) | instid1(VALU_DEP_2)
	v_cndmask_b32_e64 v30, v9, 0x78, vcc_lo
	v_cndmask_b32_e32 v7, v31, v7, vcc_lo
	v_add_nc_u32_e32 v9, 20, v30
	v_add_nc_u32_e32 v31, 19, v30
	s_delay_alu instid0(VALU_DEP_2) | instskip(NEXT) | instid1(VALU_DEP_1)
	v_lshlrev_b64 v[9:10], v9, -1
	v_not_b32_e32 v33, v9
	s_delay_alu instid0(VALU_DEP_2) | instskip(NEXT) | instid1(VALU_DEP_4)
	v_not_b32_e32 v32, v10
	v_lshlrev_b64 v[9:10], v31, 1
	s_delay_alu instid0(VALU_DEP_3) | instskip(SKIP_1) | instid1(VALU_DEP_4)
	v_and_b32_e32 v31, v7, v33
	v_lshrrev_b64 v[7:8], v30, v[7:8]
	v_and_b32_e32 v32, 0, v32
	s_delay_alu instid0(VALU_DEP_1) | instskip(NEXT) | instid1(VALU_DEP_3)
	v_cmp_eq_u64_e64 s0, v[31:32], v[9:10]
	v_dual_mov_b32 v10, v8 :: v_dual_mov_b32 v9, v7
	s_delay_alu instid0(VALU_DEP_2)
	s_and_saveexec_b32 s5, s0
; %bb.341:
	v_bfe_u32 v9, v7, 20, 1
	s_delay_alu instid0(VALU_DEP_1) | instskip(NEXT) | instid1(VALU_DEP_1)
	v_add_co_u32 v9, s0, v7, v9
	v_add_co_u32 v9, s0, v9, -1
; %bb.342:
	s_or_b32 exec_lo, exec_lo, s5
	v_add_nc_u32_e32 v10, 0xffffff81, v16
	v_lshrrev_b32_e32 v16, 23, v7
	s_delay_alu instid0(VALU_DEP_3) | instskip(SKIP_1) | instid1(VALU_DEP_3)
	v_and_b32_e32 v9, 0xfffff, v9
	s_mov_b32 s0, exec_lo
	v_cndmask_b32_e64 v10, v10, 0xffffff82, vcc_lo
	s_delay_alu instid0(VALU_DEP_2) | instskip(SKIP_1) | instid1(VALU_DEP_3)
	v_add_co_u32 v7, vcc_lo, v9, v7
	v_add_co_ci_u32_e32 v8, vcc_lo, 0, v8, vcc_lo
	v_add3_u32 v10, v30, v10, v16
                                        ; implicit-def: $vgpr9
	s_delay_alu instid0(VALU_DEP_1) | instskip(NEXT) | instid1(VALU_DEP_1)
	v_add_nc_u32_e32 v16, 6, v10
	v_cmpx_ne_u32_e32 0, v16
	s_xor_b32 s0, exec_lo, s0
; %bb.343:
	v_cmp_lt_u64_e32 vcc_lo, 0xffffff, v[7:8]
	v_add_nc_u32_e32 v9, 7, v10
	v_cndmask_b32_e64 v10, 0, 1, vcc_lo
	s_delay_alu instid0(VALU_DEP_2) | instskip(NEXT) | instid1(VALU_DEP_2)
	v_cndmask_b32_e32 v9, v16, v9, vcc_lo
	v_lshrrev_b64 v[7:8], v10, v[7:8]
; %bb.344:
	s_and_not1_saveexec_b32 s0, s0
; %bb.345:
	s_delay_alu instid0(VALU_DEP_1)
	v_bfe_u32 v9, v7, 23, 1
; %bb.346:
	s_or_b32 exec_lo, exec_lo, s0
	s_delay_alu instid0(VALU_DEP_2) | instskip(NEXT) | instid1(VALU_DEP_2)
	v_lshrrev_b64 v[7:8], 20, v[7:8]
	v_cmp_gt_i32_e32 vcc_lo, 16, v9
	v_cmp_ne_u32_e64 s0, 0, v9
                                        ; implicit-def: $vgpr16
	s_delay_alu instid0(VALU_DEP_3) | instskip(NEXT) | instid1(VALU_DEP_1)
	v_dual_cndmask_b32 v8, 0, v8 :: v_dual_cndmask_b32 v7, 7, v7
	v_cmp_ne_u64_e32 vcc_lo, 0, v[7:8]
	s_delay_alu instid0(VALU_DEP_3) | instskip(NEXT) | instid1(SALU_CYCLE_1)
	s_or_b32 s0, s0, vcc_lo
	s_and_saveexec_b32 s5, s0
	s_delay_alu instid0(SALU_CYCLE_1)
	s_xor_b32 s0, exec_lo, s5
; %bb.347:
	v_min_i32_e32 v8, 15, v9
	s_delay_alu instid0(VALU_DEP_1) | instskip(NEXT) | instid1(VALU_DEP_1)
	v_lshl_or_b32 v8, v8, 3, v29
                                        ; implicit-def: $vgpr29
	v_and_or_b32 v16, v7, 7, v8
; %bb.348:
	s_and_not1_saveexec_b32 s0, s0
; %bb.349:
	v_mov_b32_e32 v16, v29
; %bb.350:
	s_or_b32 exec_lo, exec_lo, s0
.LBB6_351:
	s_delay_alu instid0(SALU_CYCLE_1)
	s_or_b32 exec_lo, exec_lo, s4
.LBB6_352:
	s_and_not1_saveexec_b32 s0, s3
	s_delay_alu instid0(SALU_CYCLE_1)
	s_or_b32 exec_lo, exec_lo, s0
                                        ; implicit-def: $vgpr10
                                        ; implicit-def: $vgpr7_vgpr8
.LBB6_353:
	s_and_not1_saveexec_b32 s0, s2
; %bb.354:
	v_cmp_eq_u64_e32 vcc_lo, 0, v[7:8]
	v_or_b32_e32 v9, 0x7f, v10
	s_delay_alu instid0(VALU_DEP_1)
	v_cndmask_b32_e32 v16, v9, v16, vcc_lo
; %bb.355:
	s_or_b32 exec_lo, exec_lo, s0
	v_dual_mul_f32 v7, v14, v13 :: v_dual_mov_b32 v8, 0
	s_mov_b32 s0, 0xc3e00000
	s_delay_alu instid0(VALU_DEP_1) | instid1(SALU_CYCLE_1)
	v_maxmin_f32 v10, v7, s0, 0x43e00000
	s_mov_b32 s0, exec_lo
	s_delay_alu instid0(VALU_DEP_2) | instskip(NEXT) | instid1(VALU_DEP_2)
	v_mov_b32_e32 v30, v8
	v_lshrrev_b32_e32 v14, 24, v10
	v_and_b32_e32 v29, 0x7f800000, v10
	v_and_b32_e32 v7, 0x7fffff, v10
	s_delay_alu instid0(VALU_DEP_3) | instskip(NEXT) | instid1(VALU_DEP_1)
	v_and_b32_e32 v13, 0x80, v14
	v_or_b32_e32 v9, 0x7e, v13
	s_delay_alu instid0(VALU_DEP_4)
	v_cmpx_ne_u64_e32 0x7f800000, v[29:30]
	s_xor_b32 s2, exec_lo, s0
	s_cbranch_execz .LBB6_371
; %bb.356:
	v_dual_mov_b32 v30, v8 :: v_dual_and_b32 v29, 0x7fffffff, v10
	s_mov_b32 s0, exec_lo
	s_delay_alu instid0(VALU_DEP_1)
	v_cmpx_gt_u64_e32 0x43e00001, v[29:30]
	s_xor_b32 s3, exec_lo, s0
	s_cbranch_execz .LBB6_370
; %bb.357:
	v_mov_b32_e32 v9, 0
	s_mov_b32 s4, exec_lo
	v_cmpx_ne_u32_e32 0, v10
	s_cbranch_execz .LBB6_369
; %bb.358:
	v_bfe_u32 v14, v10, 23, 8
	v_or_b32_e32 v30, 0x800000, v7
	s_delay_alu instid0(VALU_DEP_2) | instskip(SKIP_1) | instid1(VALU_DEP_2)
	v_sub_nc_u32_e32 v9, 0x79, v14
	v_cmp_gt_u32_e32 vcc_lo, 0x7a, v14
	v_cndmask_b32_e32 v9, 0, v9, vcc_lo
	v_cmp_eq_u32_e32 vcc_lo, 0, v14
	s_delay_alu instid0(VALU_DEP_2) | instskip(NEXT) | instid1(VALU_DEP_1)
	v_cndmask_b32_e64 v29, v9, 0x78, vcc_lo
	v_dual_cndmask_b32 v7, v30, v7 :: v_dual_add_nc_u32 v30, 19, v29
	v_add_nc_u32_e32 v9, 20, v29
	s_delay_alu instid0(VALU_DEP_1) | instskip(NEXT) | instid1(VALU_DEP_1)
	v_lshlrev_b64 v[9:10], v9, -1
	v_not_b32_e32 v32, v9
	s_delay_alu instid0(VALU_DEP_2) | instskip(SKIP_1) | instid1(VALU_DEP_3)
	v_not_b32_e32 v31, v10
	v_lshlrev_b64 v[9:10], v30, 1
	v_and_b32_e32 v30, v7, v32
	v_lshrrev_b64 v[7:8], v29, v[7:8]
	s_delay_alu instid0(VALU_DEP_4) | instskip(NEXT) | instid1(VALU_DEP_1)
	v_and_b32_e32 v31, 0, v31
	v_cmp_eq_u64_e64 s0, v[30:31], v[9:10]
	s_delay_alu instid0(VALU_DEP_3) | instskip(NEXT) | instid1(VALU_DEP_2)
	v_dual_mov_b32 v10, v8 :: v_dual_mov_b32 v9, v7
	s_and_saveexec_b32 s5, s0
; %bb.359:
	v_bfe_u32 v9, v7, 20, 1
	s_delay_alu instid0(VALU_DEP_1) | instskip(NEXT) | instid1(VALU_DEP_1)
	v_add_co_u32 v9, s0, v7, v9
	v_add_co_u32 v9, s0, v9, -1
; %bb.360:
	s_or_b32 exec_lo, exec_lo, s5
	v_add_nc_u32_e32 v10, 0xffffff81, v14
	v_lshrrev_b32_e32 v14, 23, v7
	s_mov_b32 s0, exec_lo
	s_delay_alu instid0(VALU_DEP_2) | instskip(NEXT) | instid1(VALU_DEP_1)
	v_cndmask_b32_e64 v10, v10, 0xffffff82, vcc_lo
	v_add3_u32 v14, v29, v10, v14
	v_and_b32_e32 v10, 0xfffff, v9
	s_delay_alu instid0(VALU_DEP_2) | instskip(NEXT) | instid1(VALU_DEP_2)
	v_add_nc_u32_e32 v9, 6, v14
	v_add_co_u32 v7, vcc_lo, v10, v7
	v_add_co_ci_u32_e32 v8, vcc_lo, 0, v8, vcc_lo
                                        ; implicit-def: $vgpr10
	s_delay_alu instid0(VALU_DEP_3)
	v_cmpx_ne_u32_e32 0, v9
	s_xor_b32 s0, exec_lo, s0
; %bb.361:
	s_delay_alu instid0(VALU_DEP_2) | instskip(SKIP_1) | instid1(VALU_DEP_1)
	v_cmp_lt_u64_e32 vcc_lo, 0xffffff, v[7:8]
	v_add_nc_u32_e32 v10, 7, v14
	v_cndmask_b32_e32 v10, v9, v10, vcc_lo
	v_cndmask_b32_e64 v9, 0, 1, vcc_lo
	s_delay_alu instid0(VALU_DEP_1)
	v_lshrrev_b64 v[7:8], v9, v[7:8]
; %bb.362:
	s_and_not1_saveexec_b32 s0, s0
; %bb.363:
	s_delay_alu instid0(VALU_DEP_1)
	v_bfe_u32 v10, v7, 23, 1
; %bb.364:
	s_or_b32 exec_lo, exec_lo, s0
	s_delay_alu instid0(VALU_DEP_2) | instskip(NEXT) | instid1(VALU_DEP_2)
	v_lshrrev_b64 v[7:8], 20, v[7:8]
	v_cmp_gt_i32_e32 vcc_lo, 16, v10
	v_cmp_ne_u32_e64 s0, 0, v10
                                        ; implicit-def: $vgpr9
	s_delay_alu instid0(VALU_DEP_3) | instskip(NEXT) | instid1(VALU_DEP_1)
	v_dual_cndmask_b32 v8, 0, v8 :: v_dual_cndmask_b32 v7, 7, v7
	v_cmp_ne_u64_e32 vcc_lo, 0, v[7:8]
	s_delay_alu instid0(VALU_DEP_3) | instskip(NEXT) | instid1(SALU_CYCLE_1)
	s_or_b32 s0, s0, vcc_lo
	s_and_saveexec_b32 s5, s0
	s_delay_alu instid0(SALU_CYCLE_1)
	s_xor_b32 s0, exec_lo, s5
; %bb.365:
	v_min_i32_e32 v8, 15, v10
	s_delay_alu instid0(VALU_DEP_1) | instskip(NEXT) | instid1(VALU_DEP_1)
	v_lshl_or_b32 v8, v8, 3, v13
                                        ; implicit-def: $vgpr13
	v_and_or_b32 v9, v7, 7, v8
; %bb.366:
	s_and_not1_saveexec_b32 s0, s0
; %bb.367:
	v_mov_b32_e32 v9, v13
; %bb.368:
	s_or_b32 exec_lo, exec_lo, s0
.LBB6_369:
	s_delay_alu instid0(SALU_CYCLE_1)
	s_or_b32 exec_lo, exec_lo, s4
.LBB6_370:
	s_and_not1_saveexec_b32 s0, s3
	s_delay_alu instid0(SALU_CYCLE_1)
	s_or_b32 exec_lo, exec_lo, s0
                                        ; implicit-def: $vgpr14
                                        ; implicit-def: $vgpr7_vgpr8
.LBB6_371:
	s_and_not1_saveexec_b32 s0, s2
; %bb.372:
	v_cmp_eq_u64_e32 vcc_lo, 0, v[7:8]
	v_or_b32_e32 v10, 0x7f, v14
	s_delay_alu instid0(VALU_DEP_1)
	v_cndmask_b32_e32 v9, v10, v9, vcc_lo
; %bb.373:
	s_or_b32 exec_lo, exec_lo, s0
	v_mad_i64_i32 v[7:8], null, 0x240, s8, v[3:4]
	v_lshlrev_b64 v[5:6], 3, v[5:6]
	v_lshlrev_b16 v10, 8, v21
	v_and_b32_e32 v13, 0xff, v22
	v_lshlrev_b16 v9, 8, v9
	v_and_b32_e32 v14, 0xff, v16
	;; [unrolled: 2-line block ×3, first 2 shown]
	v_add_co_u32 v3, vcc_lo, v7, v5
	v_add_co_ci_u32_e32 v4, vcc_lo, v8, v6, vcc_lo
	v_or_b32_e32 v5, v13, v10
	v_or_b32_e32 v6, v14, v9
	;; [unrolled: 1-line block ×3, first 2 shown]
	v_lshlrev_b16 v8, 8, v23
	v_and_b32_e32 v9, 0xff, v24
	v_lshlrev_b16 v10, 8, v20
	v_and_b32_e32 v13, 0xff, v19
	;; [unrolled: 2-line block ×5, first 2 shown]
	v_or_b32_e32 v8, v9, v8
	v_or_b32_e32 v9, v13, v10
	v_or_b32_e32 v10, v16, v14
	v_or_b32_e32 v12, v12, v15
	v_or_b32_e32 v13, v17, v18
	v_and_b32_e32 v5, 0xffff, v5
	v_lshlrev_b32_e32 v6, 16, v6
	v_and_b32_e32 v7, 0xffff, v7
	v_lshlrev_b32_e32 v14, 16, v8
	v_and_b32_e32 v9, 0xffff, v9
	v_lshlrev_b32_e32 v10, 16, v10
	v_and_b32_e32 v12, 0xffff, v12
	v_lshlrev_b32_e32 v13, 16, v13
	v_add_co_u32 v1, vcc_lo, v1, v37
	v_add_co_ci_u32_e32 v2, vcc_lo, 0, v2, vcc_lo
	v_and_b32_e32 v0, 3, v0
	v_or_b32_e32 v8, v5, v6
	v_or_b32_e32 v7, v7, v14
	;; [unrolled: 1-line block ×4, first 2 shown]
	s_mov_b32 s0, exec_lo
	global_store_b128 v[1:2], v[5:8], off
	v_cmpx_eq_u32_e32 0, v0
	s_cbranch_execz .LBB6_375
; %bb.374:
	v_add_f32_e32 v0, 0x42fe0000, v11
	v_lshrrev_b32_e32 v1, 2, v38
	s_delay_alu instid0(VALU_DEP_2) | instskip(NEXT) | instid1(VALU_DEP_1)
	v_minmax_f32 v0, v0, 0x437f0000, 0
	v_cvt_i32_f32_e32 v2, v0
	s_delay_alu instid0(VALU_DEP_3)
	v_add_co_u32 v0, vcc_lo, v3, v1
	v_add_co_ci_u32_e32 v1, vcc_lo, 0, v4, vcc_lo
	global_store_b8 v[0:1], v2, off
.LBB6_375:
	s_or_b32 exec_lo, exec_lo, s0
	s_delay_alu instid0(SALU_CYCLE_1)
	s_mov_b32 s0, exec_lo
	v_cmpx_eq_u32_e32 0, v38
	s_cbranch_execz .LBB6_377
; %bb.376:
	v_mov_b32_e32 v0, 0
	global_store_b8 v[3:4], v0, off offset:7
.LBB6_377:
	s_or_b32 exec_lo, exec_lo, s0
                                        ; implicit-def: $vgpr37
                                        ; implicit-def: $vgpr34
                                        ; implicit-def: $vgpr35
                                        ; implicit-def: $vgpr39
                                        ; implicit-def: $vgpr40
                                        ; implicit-def: $vgpr41
                                        ; implicit-def: $vgpr42
                                        ; implicit-def: $vgpr43
                                        ; implicit-def: $vgpr44
                                        ; implicit-def: $vgpr45
                                        ; implicit-def: $vgpr46
                                        ; implicit-def: $vgpr47
                                        ; implicit-def: $vgpr48
                                        ; implicit-def: $vgpr49
                                        ; implicit-def: $vgpr50
                                        ; implicit-def: $vgpr51
                                        ; implicit-def: $vgpr52
                                        ; implicit-def: $vgpr1_vgpr2
.LBB6_378:
	s_and_not1_saveexec_b32 s0, s1
	s_cbranch_execz .LBB6_380
; %bb.379:
	v_lshlrev_b32_e32 v0, 1, v37
	v_perm_b32 v3, v44, v43, 0x7060302
	v_perm_b32 v7, v52, v51, 0x7060302
	;; [unrolled: 1-line block ×4, first 2 shown]
	s_waitcnt lgkmcnt(0)
	v_add_co_u32 v8, vcc_lo, v1, v0
	v_add_co_ci_u32_e32 v9, vcc_lo, 0, v2, vcc_lo
	v_perm_b32 v2, v42, v41, 0x7060302
	v_perm_b32 v1, v40, v39, 0x7060302
	;; [unrolled: 1-line block ×4, first 2 shown]
	s_clause 0x1
	global_store_b128 v[8:9], v[0:3], off offset:-448
	global_store_b128 v[8:9], v[4:7], off offset:-432
.LBB6_380:
	s_or_b32 exec_lo, exec_lo, s7
                                        ; implicit-def: $vgpr33
                                        ; implicit-def: $vgpr35
                                        ; implicit-def: $vgpr37
                                        ; implicit-def: $vgpr1_vgpr2_vgpr3_vgpr4_vgpr5_vgpr6_vgpr7_vgpr8_vgpr9_vgpr10_vgpr11_vgpr12_vgpr13_vgpr14_vgpr15_vgpr16
	s_and_not1_saveexec_b32 s0, s6
	s_cbranch_execz .LBB6_446
.LBB6_381:
	v_and_b32_e32 v0, 0x7f800000, v1
	s_delay_alu instid0(VALU_DEP_1) | instskip(SKIP_1) | instid1(SALU_CYCLE_1)
	v_cmp_ne_u32_e32 vcc_lo, 0x7f800000, v0
                                        ; implicit-def: $vgpr0
	s_and_saveexec_b32 s1, vcc_lo
	s_xor_b32 s1, exec_lo, s1
; %bb.382:
	v_bfe_u32 v0, v1, 16, 1
	s_delay_alu instid0(VALU_DEP_1)
	v_add3_u32 v0, v1, v0, 0x7fff
; %bb.383:
	s_and_not1_saveexec_b32 s1, s1
; %bb.384:
	v_and_b32_e32 v0, 0xffff, v1
	v_or_b32_e32 v17, 0x10000, v1
	s_delay_alu instid0(VALU_DEP_2) | instskip(NEXT) | instid1(VALU_DEP_2)
	v_cmp_eq_u32_e32 vcc_lo, 0, v0
	v_cndmask_b32_e32 v0, v17, v1, vcc_lo
; %bb.385:
	s_or_b32 exec_lo, exec_lo, s1
	v_and_b32_e32 v1, 0x7f800000, v2
	s_mov_b32 s1, exec_lo
                                        ; implicit-def: $vgpr17
	s_delay_alu instid0(VALU_DEP_1)
	v_cmpx_ne_u32_e32 0x7f800000, v1
	s_xor_b32 s1, exec_lo, s1
; %bb.386:
	v_bfe_u32 v1, v2, 16, 1
	s_delay_alu instid0(VALU_DEP_1)
	v_add3_u32 v17, v2, v1, 0x7fff
; %bb.387:
	s_and_not1_saveexec_b32 s1, s1
; %bb.388:
	v_and_b32_e32 v1, 0xffff, v2
	v_or_b32_e32 v17, 0x10000, v2
	s_delay_alu instid0(VALU_DEP_2) | instskip(NEXT) | instid1(VALU_DEP_2)
	v_cmp_eq_u32_e32 vcc_lo, 0, v1
	v_cndmask_b32_e32 v17, v17, v2, vcc_lo
; %bb.389:
	s_or_b32 exec_lo, exec_lo, s1
	v_and_b32_e32 v1, 0x7f800000, v3
	s_mov_b32 s1, exec_lo
                                        ; implicit-def: $vgpr18
	s_delay_alu instid0(VALU_DEP_1)
	v_cmpx_ne_u32_e32 0x7f800000, v1
	s_xor_b32 s1, exec_lo, s1
; %bb.390:
	v_bfe_u32 v1, v3, 16, 1
	s_delay_alu instid0(VALU_DEP_1)
	v_add3_u32 v18, v3, v1, 0x7fff
; %bb.391:
	s_and_not1_saveexec_b32 s1, s1
; %bb.392:
	v_and_b32_e32 v1, 0xffff, v3
	v_or_b32_e32 v2, 0x10000, v3
	s_delay_alu instid0(VALU_DEP_2) | instskip(NEXT) | instid1(VALU_DEP_2)
	v_cmp_eq_u32_e32 vcc_lo, 0, v1
	v_cndmask_b32_e32 v18, v2, v3, vcc_lo
; %bb.393:
	s_or_b32 exec_lo, exec_lo, s1
	v_and_b32_e32 v1, 0x7f800000, v4
	s_mov_b32 s1, exec_lo
                                        ; implicit-def: $vgpr19
	s_delay_alu instid0(VALU_DEP_1)
	v_cmpx_ne_u32_e32 0x7f800000, v1
	s_xor_b32 s1, exec_lo, s1
; %bb.394:
	v_bfe_u32 v1, v4, 16, 1
	s_delay_alu instid0(VALU_DEP_1)
	v_add3_u32 v19, v4, v1, 0x7fff
; %bb.395:
	s_and_not1_saveexec_b32 s1, s1
; %bb.396:
	v_and_b32_e32 v1, 0xffff, v4
	v_or_b32_e32 v2, 0x10000, v4
	s_delay_alu instid0(VALU_DEP_2) | instskip(NEXT) | instid1(VALU_DEP_2)
	v_cmp_eq_u32_e32 vcc_lo, 0, v1
	v_cndmask_b32_e32 v19, v2, v4, vcc_lo
; %bb.397:
	s_or_b32 exec_lo, exec_lo, s1
	v_and_b32_e32 v1, 0x7f800000, v5
	s_mov_b32 s1, exec_lo
                                        ; implicit-def: $vgpr20
	s_delay_alu instid0(VALU_DEP_1)
	v_cmpx_ne_u32_e32 0x7f800000, v1
	s_xor_b32 s1, exec_lo, s1
; %bb.398:
	v_bfe_u32 v1, v5, 16, 1
	s_delay_alu instid0(VALU_DEP_1)
	v_add3_u32 v20, v5, v1, 0x7fff
; %bb.399:
	s_and_not1_saveexec_b32 s1, s1
; %bb.400:
	v_and_b32_e32 v1, 0xffff, v5
	v_or_b32_e32 v2, 0x10000, v5
	s_delay_alu instid0(VALU_DEP_2) | instskip(NEXT) | instid1(VALU_DEP_2)
	v_cmp_eq_u32_e32 vcc_lo, 0, v1
	v_cndmask_b32_e32 v20, v2, v5, vcc_lo
; %bb.401:
	s_or_b32 exec_lo, exec_lo, s1
	v_and_b32_e32 v1, 0x7f800000, v6
	s_mov_b32 s1, exec_lo
                                        ; implicit-def: $vgpr21
	s_delay_alu instid0(VALU_DEP_1)
	v_cmpx_ne_u32_e32 0x7f800000, v1
	s_xor_b32 s1, exec_lo, s1
; %bb.402:
	v_bfe_u32 v1, v6, 16, 1
	s_delay_alu instid0(VALU_DEP_1)
	v_add3_u32 v21, v6, v1, 0x7fff
; %bb.403:
	s_and_not1_saveexec_b32 s1, s1
; %bb.404:
	v_and_b32_e32 v1, 0xffff, v6
	v_or_b32_e32 v2, 0x10000, v6
	s_delay_alu instid0(VALU_DEP_2) | instskip(NEXT) | instid1(VALU_DEP_2)
	v_cmp_eq_u32_e32 vcc_lo, 0, v1
	v_cndmask_b32_e32 v21, v2, v6, vcc_lo
; %bb.405:
	s_or_b32 exec_lo, exec_lo, s1
	v_and_b32_e32 v1, 0x7f800000, v7
	s_mov_b32 s1, exec_lo
                                        ; implicit-def: $vgpr22
	s_delay_alu instid0(VALU_DEP_1)
	v_cmpx_ne_u32_e32 0x7f800000, v1
	s_xor_b32 s1, exec_lo, s1
; %bb.406:
	v_bfe_u32 v1, v7, 16, 1
	s_delay_alu instid0(VALU_DEP_1)
	v_add3_u32 v22, v7, v1, 0x7fff
; %bb.407:
	s_and_not1_saveexec_b32 s1, s1
; %bb.408:
	v_and_b32_e32 v1, 0xffff, v7
	v_or_b32_e32 v2, 0x10000, v7
	s_delay_alu instid0(VALU_DEP_2) | instskip(NEXT) | instid1(VALU_DEP_2)
	v_cmp_eq_u32_e32 vcc_lo, 0, v1
	v_cndmask_b32_e32 v22, v2, v7, vcc_lo
; %bb.409:
	s_or_b32 exec_lo, exec_lo, s1
	s_waitcnt lgkmcnt(0)
	v_and_b32_e32 v1, 0x7f800000, v8
	s_mov_b32 s1, exec_lo
                                        ; implicit-def: $vgpr23
	s_delay_alu instid0(VALU_DEP_1)
	v_cmpx_ne_u32_e32 0x7f800000, v1
	s_xor_b32 s1, exec_lo, s1
; %bb.410:
	v_bfe_u32 v1, v8, 16, 1
	s_delay_alu instid0(VALU_DEP_1)
	v_add3_u32 v23, v8, v1, 0x7fff
; %bb.411:
	s_and_not1_saveexec_b32 s1, s1
; %bb.412:
	v_and_b32_e32 v1, 0xffff, v8
	v_or_b32_e32 v2, 0x10000, v8
	s_delay_alu instid0(VALU_DEP_2) | instskip(NEXT) | instid1(VALU_DEP_2)
	v_cmp_eq_u32_e32 vcc_lo, 0, v1
	v_cndmask_b32_e32 v23, v2, v8, vcc_lo
; %bb.413:
	s_or_b32 exec_lo, exec_lo, s1
	v_and_b32_e32 v1, 0x7f800000, v9
	s_mov_b32 s1, exec_lo
                                        ; implicit-def: $vgpr24
	s_delay_alu instid0(VALU_DEP_1)
	v_cmpx_ne_u32_e32 0x7f800000, v1
	s_xor_b32 s1, exec_lo, s1
; %bb.414:
	v_bfe_u32 v1, v9, 16, 1
	s_delay_alu instid0(VALU_DEP_1)
	v_add3_u32 v24, v9, v1, 0x7fff
; %bb.415:
	s_and_not1_saveexec_b32 s1, s1
; %bb.416:
	v_and_b32_e32 v1, 0xffff, v9
	v_or_b32_e32 v2, 0x10000, v9
	s_delay_alu instid0(VALU_DEP_2) | instskip(NEXT) | instid1(VALU_DEP_2)
	v_cmp_eq_u32_e32 vcc_lo, 0, v1
	v_cndmask_b32_e32 v24, v2, v9, vcc_lo
; %bb.417:
	s_or_b32 exec_lo, exec_lo, s1
	v_and_b32_e32 v1, 0x7f800000, v10
	s_mov_b32 s1, exec_lo
                                        ; implicit-def: $vgpr25
	s_delay_alu instid0(VALU_DEP_1)
	v_cmpx_ne_u32_e32 0x7f800000, v1
	s_xor_b32 s1, exec_lo, s1
; %bb.418:
	v_bfe_u32 v1, v10, 16, 1
	s_delay_alu instid0(VALU_DEP_1)
	v_add3_u32 v25, v10, v1, 0x7fff
; %bb.419:
	s_and_not1_saveexec_b32 s1, s1
; %bb.420:
	v_and_b32_e32 v1, 0xffff, v10
	v_or_b32_e32 v2, 0x10000, v10
	s_delay_alu instid0(VALU_DEP_2) | instskip(NEXT) | instid1(VALU_DEP_2)
	v_cmp_eq_u32_e32 vcc_lo, 0, v1
	v_cndmask_b32_e32 v25, v2, v10, vcc_lo
; %bb.421:
	s_or_b32 exec_lo, exec_lo, s1
	v_and_b32_e32 v1, 0x7f800000, v11
	s_mov_b32 s1, exec_lo
                                        ; implicit-def: $vgpr26
	s_delay_alu instid0(VALU_DEP_1)
	v_cmpx_ne_u32_e32 0x7f800000, v1
	s_xor_b32 s1, exec_lo, s1
; %bb.422:
	v_bfe_u32 v1, v11, 16, 1
	s_delay_alu instid0(VALU_DEP_1)
	v_add3_u32 v26, v11, v1, 0x7fff
; %bb.423:
	s_and_not1_saveexec_b32 s1, s1
; %bb.424:
	v_and_b32_e32 v1, 0xffff, v11
	v_or_b32_e32 v2, 0x10000, v11
	s_delay_alu instid0(VALU_DEP_2) | instskip(NEXT) | instid1(VALU_DEP_2)
	v_cmp_eq_u32_e32 vcc_lo, 0, v1
	v_cndmask_b32_e32 v26, v2, v11, vcc_lo
; %bb.425:
	s_or_b32 exec_lo, exec_lo, s1
	v_and_b32_e32 v1, 0x7f800000, v12
	s_mov_b32 s1, exec_lo
                                        ; implicit-def: $vgpr27
	s_delay_alu instid0(VALU_DEP_1)
	v_cmpx_ne_u32_e32 0x7f800000, v1
	s_xor_b32 s1, exec_lo, s1
; %bb.426:
	v_bfe_u32 v1, v12, 16, 1
	s_delay_alu instid0(VALU_DEP_1)
	v_add3_u32 v27, v12, v1, 0x7fff
; %bb.427:
	s_and_not1_saveexec_b32 s1, s1
; %bb.428:
	v_and_b32_e32 v1, 0xffff, v12
	v_or_b32_e32 v2, 0x10000, v12
	s_delay_alu instid0(VALU_DEP_2) | instskip(NEXT) | instid1(VALU_DEP_2)
	v_cmp_eq_u32_e32 vcc_lo, 0, v1
	v_cndmask_b32_e32 v27, v2, v12, vcc_lo
; %bb.429:
	s_or_b32 exec_lo, exec_lo, s1
	v_and_b32_e32 v1, 0x7f800000, v13
	s_mov_b32 s1, exec_lo
                                        ; implicit-def: $vgpr28
	s_delay_alu instid0(VALU_DEP_1)
	v_cmpx_ne_u32_e32 0x7f800000, v1
	s_xor_b32 s1, exec_lo, s1
; %bb.430:
	v_bfe_u32 v1, v13, 16, 1
	s_delay_alu instid0(VALU_DEP_1)
	v_add3_u32 v28, v13, v1, 0x7fff
; %bb.431:
	s_and_not1_saveexec_b32 s1, s1
; %bb.432:
	v_and_b32_e32 v1, 0xffff, v13
	v_or_b32_e32 v2, 0x10000, v13
	s_delay_alu instid0(VALU_DEP_2) | instskip(NEXT) | instid1(VALU_DEP_2)
	v_cmp_eq_u32_e32 vcc_lo, 0, v1
	v_cndmask_b32_e32 v28, v2, v13, vcc_lo
; %bb.433:
	s_or_b32 exec_lo, exec_lo, s1
	v_and_b32_e32 v1, 0x7f800000, v14
	s_mov_b32 s1, exec_lo
                                        ; implicit-def: $vgpr29
	s_delay_alu instid0(VALU_DEP_1)
	v_cmpx_ne_u32_e32 0x7f800000, v1
	s_xor_b32 s1, exec_lo, s1
; %bb.434:
	v_bfe_u32 v1, v14, 16, 1
	s_delay_alu instid0(VALU_DEP_1)
	v_add3_u32 v29, v14, v1, 0x7fff
; %bb.435:
	s_and_not1_saveexec_b32 s1, s1
; %bb.436:
	v_and_b32_e32 v1, 0xffff, v14
	v_or_b32_e32 v2, 0x10000, v14
	s_delay_alu instid0(VALU_DEP_2) | instskip(NEXT) | instid1(VALU_DEP_2)
	v_cmp_eq_u32_e32 vcc_lo, 0, v1
	v_cndmask_b32_e32 v29, v2, v14, vcc_lo
; %bb.437:
	s_or_b32 exec_lo, exec_lo, s1
	v_and_b32_e32 v1, 0x7f800000, v15
	s_mov_b32 s1, exec_lo
                                        ; implicit-def: $vgpr30
	s_delay_alu instid0(VALU_DEP_1)
	v_cmpx_ne_u32_e32 0x7f800000, v1
	s_xor_b32 s1, exec_lo, s1
; %bb.438:
	v_bfe_u32 v1, v15, 16, 1
	s_delay_alu instid0(VALU_DEP_1)
	v_add3_u32 v30, v15, v1, 0x7fff
; %bb.439:
	s_and_not1_saveexec_b32 s1, s1
; %bb.440:
	v_and_b32_e32 v1, 0xffff, v15
	v_or_b32_e32 v2, 0x10000, v15
	s_delay_alu instid0(VALU_DEP_2) | instskip(NEXT) | instid1(VALU_DEP_2)
	v_cmp_eq_u32_e32 vcc_lo, 0, v1
	v_cndmask_b32_e32 v30, v2, v15, vcc_lo
; %bb.441:
	s_or_b32 exec_lo, exec_lo, s1
	v_and_b32_e32 v1, 0x7f800000, v16
	s_mov_b32 s1, exec_lo
                                        ; implicit-def: $vgpr31
	s_delay_alu instid0(VALU_DEP_1)
	v_cmpx_ne_u32_e32 0x7f800000, v1
	s_xor_b32 s1, exec_lo, s1
; %bb.442:
	v_bfe_u32 v1, v16, 16, 1
	s_delay_alu instid0(VALU_DEP_1)
	v_add3_u32 v31, v16, v1, 0x7fff
                                        ; implicit-def: $vgpr1_vgpr2_vgpr3_vgpr4_vgpr5_vgpr6_vgpr7_vgpr8_vgpr9_vgpr10_vgpr11_vgpr12_vgpr13_vgpr14_vgpr15_vgpr16
; %bb.443:
	s_and_not1_saveexec_b32 s1, s1
; %bb.444:
	v_and_b32_e32 v1, 0xffff, v16
	v_or_b32_e32 v2, 0x10000, v16
	s_delay_alu instid0(VALU_DEP_2) | instskip(NEXT) | instid1(VALU_DEP_2)
	v_cmp_eq_u32_e32 vcc_lo, 0, v1
	v_cndmask_b32_e32 v31, v2, v16, vcc_lo
; %bb.445:
	s_or_b32 exec_lo, exec_lo, s1
	v_ashrrev_i32_e32 v36, 31, v35
	v_lshlrev_b64 v[1:2], 14, v[33:34]
	v_lshlrev_b32_e32 v5, 1, v37
	v_perm_b32 v0, v17, v0, 0x7060302
	v_perm_b32 v7, v31, v30, 0x7060302
	v_lshlrev_b64 v[3:4], 10, v[35:36]
	v_perm_b32 v6, v29, v28, 0x7060302
	v_add_co_u32 v1, vcc_lo, s12, v1
	v_add_co_ci_u32_e32 v2, vcc_lo, s13, v2, vcc_lo
	s_delay_alu instid0(VALU_DEP_2) | instskip(NEXT) | instid1(VALU_DEP_2)
	v_add_co_u32 v1, vcc_lo, v1, v3
	v_add_co_ci_u32_e32 v2, vcc_lo, v2, v4, vcc_lo
	v_perm_b32 v3, v23, v22, 0x7060302
	s_delay_alu instid0(VALU_DEP_3) | instskip(NEXT) | instid1(VALU_DEP_3)
	v_add_co_u32 v8, vcc_lo, v1, v5
	v_add_co_ci_u32_e32 v9, vcc_lo, 0, v2, vcc_lo
	v_perm_b32 v2, v21, v20, 0x7060302
	v_perm_b32 v1, v19, v18, 0x7060302
	;; [unrolled: 1-line block ×4, first 2 shown]
	s_clause 0x1
	global_store_b128 v[8:9], v[0:3], off
	global_store_b128 v[8:9], v[4:7], off offset:16
.LBB6_446:
	s_or_b32 exec_lo, exec_lo, s0
                                        ; implicit-def: $vgpr33
                                        ; implicit-def: $vgpr35
                                        ; implicit-def: $vgpr37
.LBB6_447:
	s_and_not1_saveexec_b32 s0, s9
	s_cbranch_execz .LBB6_449
; %bb.448:
	v_ashrrev_i32_e32 v36, 31, v35
	v_lshlrev_b64 v[0:1], 14, v[33:34]
	s_mov_b32 s0, 0
	s_delay_alu instid0(SALU_CYCLE_1) | instskip(NEXT) | instid1(VALU_DEP_2)
	s_mov_b32 s1, s0
	v_lshlrev_b64 v[2:3], 10, v[35:36]
	s_mov_b32 s2, s0
	s_waitcnt lgkmcnt(0)
	v_add_co_u32 v0, vcc_lo, s12, v0
	v_add_co_ci_u32_e32 v1, vcc_lo, s13, v1, vcc_lo
	s_mov_b32 s3, s0
	v_lshlrev_b32_e32 v4, 1, v37
	s_waitcnt vmcnt(1)
	v_add_co_u32 v5, vcc_lo, v0, v2
	v_add_co_ci_u32_e32 v6, vcc_lo, v1, v3, vcc_lo
	v_dual_mov_b32 v0, s0 :: v_dual_mov_b32 v3, s3
	v_mov_b32_e32 v1, s1
	s_delay_alu instid0(VALU_DEP_4)
	v_add_co_u32 v4, vcc_lo, v5, v4
	v_mov_b32_e32 v2, s2
	v_add_co_ci_u32_e32 v5, vcc_lo, 0, v6, vcc_lo
	s_clause 0x1
	global_store_b128 v[4:5], v[0:3], off
	global_store_b128 v[4:5], v[0:3], off offset:16
.LBB6_449:
	s_nop 0
	s_sendmsg sendmsg(MSG_DEALLOC_VGPRS)
	s_endpgm
	.section	.rodata,"a",@progbits
	.p2align	6, 0x0
	.amdhsa_kernel _ZN4vllm21deepseek_v4_fused_ops47fusedDeepseekV4QNormRopeKVRopeQuantInsertKernelIN3c108BFloat16ELi16EEEvPKT_PS4_S6_PhPKlSA_PKffiiiii
		.amdhsa_group_segment_fixed_size 0
		.amdhsa_private_segment_fixed_size 0
		.amdhsa_kernarg_size 336
		.amdhsa_user_sgpr_count 15
		.amdhsa_user_sgpr_dispatch_ptr 0
		.amdhsa_user_sgpr_queue_ptr 0
		.amdhsa_user_sgpr_kernarg_segment_ptr 1
		.amdhsa_user_sgpr_dispatch_id 0
		.amdhsa_user_sgpr_private_segment_size 0
		.amdhsa_wavefront_size32 1
		.amdhsa_uses_dynamic_stack 0
		.amdhsa_enable_private_segment 0
		.amdhsa_system_sgpr_workgroup_id_x 1
		.amdhsa_system_sgpr_workgroup_id_y 0
		.amdhsa_system_sgpr_workgroup_id_z 0
		.amdhsa_system_sgpr_workgroup_info 0
		.amdhsa_system_vgpr_workitem_id 0
		.amdhsa_next_free_vgpr 53
		.amdhsa_next_free_sgpr 22
		.amdhsa_reserve_vcc 1
		.amdhsa_float_round_mode_32 0
		.amdhsa_float_round_mode_16_64 0
		.amdhsa_float_denorm_mode_32 3
		.amdhsa_float_denorm_mode_16_64 3
		.amdhsa_dx10_clamp 1
		.amdhsa_ieee_mode 1
		.amdhsa_fp16_overflow 0
		.amdhsa_workgroup_processor_mode 1
		.amdhsa_memory_ordered 1
		.amdhsa_forward_progress 0
		.amdhsa_shared_vgpr_count 0
		.amdhsa_exception_fp_ieee_invalid_op 0
		.amdhsa_exception_fp_denorm_src 0
		.amdhsa_exception_fp_ieee_div_zero 0
		.amdhsa_exception_fp_ieee_overflow 0
		.amdhsa_exception_fp_ieee_underflow 0
		.amdhsa_exception_fp_ieee_inexact 0
		.amdhsa_exception_int_div_zero 0
	.end_amdhsa_kernel
	.section	.text._ZN4vllm21deepseek_v4_fused_ops47fusedDeepseekV4QNormRopeKVRopeQuantInsertKernelIN3c108BFloat16ELi16EEEvPKT_PS4_S6_PhPKlSA_PKffiiiii,"axG",@progbits,_ZN4vllm21deepseek_v4_fused_ops47fusedDeepseekV4QNormRopeKVRopeQuantInsertKernelIN3c108BFloat16ELi16EEEvPKT_PS4_S6_PhPKlSA_PKffiiiii,comdat
.Lfunc_end6:
	.size	_ZN4vllm21deepseek_v4_fused_ops47fusedDeepseekV4QNormRopeKVRopeQuantInsertKernelIN3c108BFloat16ELi16EEEvPKT_PS4_S6_PhPKlSA_PKffiiiii, .Lfunc_end6-_ZN4vllm21deepseek_v4_fused_ops47fusedDeepseekV4QNormRopeKVRopeQuantInsertKernelIN3c108BFloat16ELi16EEEvPKT_PS4_S6_PhPKlSA_PKffiiiii
                                        ; -- End function
	.section	.AMDGPU.csdata,"",@progbits
; Kernel info:
; codeLenInByte = 16800
; NumSgprs: 24
; NumVgprs: 53
; ScratchSize: 0
; MemoryBound: 1
; FloatMode: 240
; IeeeMode: 1
; LDSByteSize: 0 bytes/workgroup (compile time only)
; SGPRBlocks: 2
; VGPRBlocks: 6
; NumSGPRsForWavesPerEU: 24
; NumVGPRsForWavesPerEU: 53
; Occupancy: 16
; WaveLimiterHint : 1
; COMPUTE_PGM_RSRC2:SCRATCH_EN: 0
; COMPUTE_PGM_RSRC2:USER_SGPR: 15
; COMPUTE_PGM_RSRC2:TRAP_HANDLER: 0
; COMPUTE_PGM_RSRC2:TGID_X_EN: 1
; COMPUTE_PGM_RSRC2:TGID_Y_EN: 0
; COMPUTE_PGM_RSRC2:TGID_Z_EN: 0
; COMPUTE_PGM_RSRC2:TIDIG_COMP_CNT: 0
	.section	.text._ZN4vllm21deepseek_v4_fused_ops47fusedDeepseekV4QNormRopeKVRopeQuantInsertKernelIN3c108BFloat16ELi32EEEvPKT_PS4_S6_PhPKlSA_PKffiiiii,"axG",@progbits,_ZN4vllm21deepseek_v4_fused_ops47fusedDeepseekV4QNormRopeKVRopeQuantInsertKernelIN3c108BFloat16ELi32EEEvPKT_PS4_S6_PhPKlSA_PKffiiiii,comdat
	.protected	_ZN4vllm21deepseek_v4_fused_ops47fusedDeepseekV4QNormRopeKVRopeQuantInsertKernelIN3c108BFloat16ELi32EEEvPKT_PS4_S6_PhPKlSA_PKffiiiii ; -- Begin function _ZN4vllm21deepseek_v4_fused_ops47fusedDeepseekV4QNormRopeKVRopeQuantInsertKernelIN3c108BFloat16ELi32EEEvPKT_PS4_S6_PhPKlSA_PKffiiiii
	.globl	_ZN4vllm21deepseek_v4_fused_ops47fusedDeepseekV4QNormRopeKVRopeQuantInsertKernelIN3c108BFloat16ELi32EEEvPKT_PS4_S6_PhPKlSA_PKffiiiii
	.p2align	8
	.type	_ZN4vllm21deepseek_v4_fused_ops47fusedDeepseekV4QNormRopeKVRopeQuantInsertKernelIN3c108BFloat16ELi32EEEvPKT_PS4_S6_PhPKlSA_PKffiiiii,@function
_ZN4vllm21deepseek_v4_fused_ops47fusedDeepseekV4QNormRopeKVRopeQuantInsertKernelIN3c108BFloat16ELi32EEEvPKT_PS4_S6_PhPKlSA_PKffiiiii: ; @_ZN4vllm21deepseek_v4_fused_ops47fusedDeepseekV4QNormRopeKVRopeQuantInsertKernelIN3c108BFloat16ELi32EEEvPKT_PS4_S6_PhPKlSA_PKffiiiii
; %bb.0:
	s_clause 0x1
	s_load_b32 s2, s[0:1], 0x5c
	s_load_b128 s[8:11], s[0:1], 0x38
	v_lshrrev_b32_e32 v3, 5, v0
	s_waitcnt lgkmcnt(0)
	s_bfe_u32 s2, s2, 0xb0005
	s_delay_alu instid0(VALU_DEP_1) | instid1(SALU_CYCLE_1)
	v_mad_u64_u32 v[1:2], null, s15, s2, v[3:4]
	s_mov_b32 s2, exec_lo
	s_delay_alu instid0(VALU_DEP_1) | instskip(NEXT) | instid1(VALU_DEP_1)
	v_mul_hi_i32 v2, 0x3e0f83e1, v1
	v_lshrrev_b32_e32 v3, 31, v2
	v_ashrrev_i32_e32 v2, 3, v2
	s_delay_alu instid0(VALU_DEP_1) | instskip(NEXT) | instid1(VALU_DEP_1)
	v_add_nc_u32_e32 v33, v2, v3
	v_cmpx_gt_i32_e64 s9, v33
	s_cbranch_execz .LBB7_449
; %bb.1:
	s_load_b64 s[14:15], s[0:1], 0x48
	v_lshl_add_u32 v2, v33, 5, v33
	v_cmp_gt_i32_e64 s3, s10, v33
	s_delay_alu instid0(VALU_DEP_2) | instskip(NEXT) | instid1(VALU_DEP_1)
	v_sub_nc_u32_e32 v35, v1, v2
	v_cmp_ne_u32_e64 s2, 32, v35
	v_cmp_eq_u32_e32 vcc_lo, 32, v35
	s_delay_alu instid0(VALU_DEP_2) | instskip(NEXT) | instid1(SALU_CYCLE_1)
	s_or_b32 s3, s2, s3
	s_and_b32 exec_lo, exec_lo, s3
	s_cbranch_execz .LBB7_449
; %bb.2:
	s_clause 0x2
	s_load_b64 s[12:13], s[0:1], 0x8
	s_load_b128 s[4:7], s[0:1], 0x20
	s_load_b64 s[16:17], s[0:1], 0x30
	v_and_b32_e32 v38, 31, v0
	v_cmp_gt_i32_e64 s3, s11, v35
	v_ashrrev_i32_e32 v34, 31, v33
	s_xor_b32 s9, s2, -1
                                        ; implicit-def: $vgpr8
                                        ; implicit-def: $vgpr16
	s_delay_alu instid0(VALU_DEP_3) | instskip(NEXT) | instid1(VALU_DEP_3)
	v_lshlrev_b32_e32 v37, 4, v38
	s_or_b32 s9, s9, s3
	s_delay_alu instid0(SALU_CYCLE_1)
	s_and_saveexec_b32 s10, s9
	s_cbranch_execz .LBB7_8
; %bb.3:
                                        ; implicit-def: $vgpr1_vgpr2
	s_and_saveexec_b32 s3, vcc_lo
	s_delay_alu instid0(SALU_CYCLE_1)
	s_xor_b32 s18, exec_lo, s3
	s_cbranch_execz .LBB7_5
; %bb.4:
	s_load_b64 s[20:21], s[0:1], 0x10
	v_lshlrev_b64 v[1:2], 10, v[33:34]
	v_lshlrev_b32_e32 v3, 1, v37
	s_waitcnt lgkmcnt(0)
	s_delay_alu instid0(VALU_DEP_2) | instskip(NEXT) | instid1(VALU_DEP_1)
	v_add_co_u32 v1, s3, s20, v1
	v_add_co_ci_u32_e64 v2, s3, s21, v2, s3
	s_delay_alu instid0(VALU_DEP_2) | instskip(NEXT) | instid1(VALU_DEP_1)
	v_add_co_u32 v1, s3, v1, v3
	v_add_co_ci_u32_e64 v2, s3, 0, v2, s3
.LBB7_5:
	s_and_not1_saveexec_b32 s18, s18
	s_cbranch_execz .LBB7_7
; %bb.6:
	v_ashrrev_i32_e32 v36, 31, v35
	s_load_b64 s[20:21], s[0:1], 0x0
	s_delay_alu instid0(VALU_DEP_1) | instskip(NEXT) | instid1(VALU_DEP_1)
	v_mad_i64_i32 v[1:2], null, v33, s11, v[35:36]
	v_lshlrev_b64 v[1:2], 10, v[1:2]
	s_delay_alu instid0(VALU_DEP_1) | instskip(SKIP_1) | instid1(VALU_DEP_1)
	v_lshl_or_b32 v1, v37, 1, v1
	s_waitcnt lgkmcnt(0)
	v_add_co_u32 v1, s3, s20, v1
	s_delay_alu instid0(VALU_DEP_1)
	v_add_co_ci_u32_e64 v2, s3, s21, v2, s3
.LBB7_7:
	s_or_b32 exec_lo, exec_lo, s18
	s_clause 0x1
	global_load_b128 v[5:8], v[1:2], off
	global_load_b128 v[13:16], v[1:2], off offset:16
.LBB7_8:
	s_or_b32 exec_lo, exec_lo, s10
	s_load_b64 s[10:11], s[0:1], 0x18
	s_and_saveexec_b32 s0, s9
	s_delay_alu instid0(SALU_CYCLE_1)
	s_xor_b32 s9, exec_lo, s0
	s_cbranch_execz .LBB7_447
; %bb.9:
	s_waitcnt vmcnt(1)
	v_lshlrev_b32_e32 v1, 16, v5
	v_and_b32_e32 v2, 0xffff0000, v5
	v_lshlrev_b32_e32 v3, 16, v6
	v_and_b32_e32 v4, 0xffff0000, v6
	;; [unrolled: 2-line block ×4, first 2 shown]
	s_waitcnt vmcnt(0)
	v_lshlrev_b32_e32 v9, 16, v13
	v_and_b32_e32 v10, 0xffff0000, v13
	v_lshlrev_b32_e32 v11, 16, v14
	v_and_b32_e32 v12, 0xffff0000, v14
	;; [unrolled: 2-line block ×4, first 2 shown]
	s_and_saveexec_b32 s1, s2
	s_cbranch_execz .LBB7_11
; %bb.10:
	v_mbcnt_lo_u32_b32 v18, -1, 0
	s_delay_alu instid0(VALU_DEP_1) | instskip(SKIP_1) | instid1(VALU_DEP_2)
	v_xor_b32_e32 v19, 16, v18
	v_xor_b32_e32 v20, 8, v18
	v_cmp_gt_i32_e64 s0, 32, v19
	s_delay_alu instid0(VALU_DEP_1) | instskip(NEXT) | instid1(VALU_DEP_3)
	v_cndmask_b32_e64 v19, v18, v19, s0
	v_cmp_gt_i32_e64 s0, 32, v20
	s_delay_alu instid0(VALU_DEP_2) | instskip(NEXT) | instid1(VALU_DEP_2)
	v_lshlrev_b32_e32 v19, 2, v19
	v_cndmask_b32_e64 v20, v18, v20, s0
	s_delay_alu instid0(VALU_DEP_1) | instskip(NEXT) | instid1(VALU_DEP_1)
	v_dual_mul_f32 v17, v2, v2 :: v_dual_lshlrev_b32 v20, 2, v20
	v_fmac_f32_e32 v17, v1, v1
	s_delay_alu instid0(VALU_DEP_1) | instskip(NEXT) | instid1(VALU_DEP_1)
	v_fmac_f32_e32 v17, v3, v3
	v_fmac_f32_e32 v17, v4, v4
	s_delay_alu instid0(VALU_DEP_1) | instskip(NEXT) | instid1(VALU_DEP_1)
	v_fmac_f32_e32 v17, v5, v5
	;; [unrolled: 3-line block ×7, first 2 shown]
	v_fmac_f32_e32 v17, v16, v16
	ds_bpermute_b32 v19, v19, v17
	s_waitcnt lgkmcnt(0)
	v_add_f32_e32 v17, v17, v19
	ds_bpermute_b32 v19, v20, v17
	v_xor_b32_e32 v20, 4, v18
	s_delay_alu instid0(VALU_DEP_1) | instskip(NEXT) | instid1(VALU_DEP_1)
	v_cmp_gt_i32_e64 s0, 32, v20
	v_cndmask_b32_e64 v20, v18, v20, s0
	s_waitcnt lgkmcnt(0)
	s_delay_alu instid0(VALU_DEP_1) | instskip(SKIP_2) | instid1(VALU_DEP_1)
	v_dual_add_f32 v17, v17, v19 :: v_dual_lshlrev_b32 v20, 2, v20
	ds_bpermute_b32 v19, v20, v17
	v_xor_b32_e32 v20, 2, v18
	v_cmp_gt_i32_e64 s0, 32, v20
	s_delay_alu instid0(VALU_DEP_1) | instskip(SKIP_1) | instid1(VALU_DEP_1)
	v_cndmask_b32_e64 v20, v18, v20, s0
	s_waitcnt lgkmcnt(0)
	v_dual_add_f32 v17, v17, v19 :: v_dual_lshlrev_b32 v20, 2, v20
	ds_bpermute_b32 v19, v20, v17
	v_xor_b32_e32 v20, 1, v18
	s_delay_alu instid0(VALU_DEP_1) | instskip(NEXT) | instid1(VALU_DEP_1)
	v_cmp_gt_i32_e64 s0, 32, v20
	v_cndmask_b32_e64 v18, v18, v20, s0
	s_waitcnt lgkmcnt(0)
	s_delay_alu instid0(VALU_DEP_1) | instskip(SKIP_4) | instid1(VALU_DEP_1)
	v_dual_add_f32 v17, v17, v19 :: v_dual_lshlrev_b32 v18, 2, v18
	v_mov_b32_e32 v19, s8
	ds_bpermute_b32 v18, v18, v17
	s_waitcnt lgkmcnt(0)
	v_add_f32_e32 v17, v17, v18
	v_fmamk_f32 v17, v17, 0x3b000000, v19
	s_delay_alu instid0(VALU_DEP_1) | instskip(SKIP_1) | instid1(VALU_DEP_1)
	v_mul_f32_e32 v18, 0x4b800000, v17
	v_cmp_gt_f32_e64 s0, 0x800000, v17
	v_cndmask_b32_e64 v17, v17, v18, s0
	s_delay_alu instid0(VALU_DEP_1) | instskip(SKIP_2) | instid1(VALU_DEP_1)
	v_rsq_f32_e32 v17, v17
	s_waitcnt_depctr 0xfff
	v_mul_f32_e32 v18, 0x45800000, v17
	v_cndmask_b32_e64 v17, v17, v18, s0
	s_delay_alu instid0(VALU_DEP_1)
	v_mul_f32_e32 v1, v17, v1
	v_mul_f32_e32 v2, v17, v2
	v_mul_f32_e32 v3, v17, v3
	v_mul_f32_e32 v4, v17, v4
	v_mul_f32_e32 v5, v17, v5
	v_mul_f32_e32 v6, v17, v6
	v_mul_f32_e32 v7, v17, v7
	v_mul_f32_e32 v8, v17, v8
	v_mul_f32_e32 v9, v17, v9
	v_mul_f32_e32 v10, v17, v10
	v_mul_f32_e32 v11, v17, v11
	v_mul_f32_e32 v12, v17, v12
	v_mul_f32_e32 v13, v17, v13
	v_mul_f32_e32 v14, v17, v14
	v_mul_f32_e32 v15, v17, v15
	v_mul_f32_e32 v16, v17, v16
.LBB7_11:
	s_or_b32 exec_lo, exec_lo, s1
	v_cmp_gt_u32_e64 s0, 28, v38
	s_mov_b32 s2, exec_lo
	v_cmpx_lt_u32_e32 27, v38
	s_cbranch_execz .LBB7_14
; %bb.12:
	v_lshlrev_b64 v[17:18], 3, v[33:34]
	v_dual_mov_b32 v20, 0 :: v_dual_add_nc_u32 v19, 0xfffffe40, v37
	s_delay_alu instid0(VALU_DEP_1) | instskip(SKIP_1) | instid1(VALU_DEP_3)
	v_lshrrev_b32_e32 v19, 1, v19
	s_waitcnt lgkmcnt(0)
	v_add_co_u32 v17, s1, s6, v17
	s_delay_alu instid0(VALU_DEP_1) | instskip(NEXT) | instid1(VALU_DEP_3)
	v_add_co_ci_u32_e64 v18, s1, s7, v18, s1
	v_lshlrev_b64 v[19:20], 2, v[19:20]
	global_load_b64 v[17:18], v[17:18], off
	s_waitcnt vmcnt(0)
	v_lshlrev_b64 v[17:18], 8, v[17:18]
	s_delay_alu instid0(VALU_DEP_1) | instskip(NEXT) | instid1(VALU_DEP_1)
	v_add_co_u32 v17, s1, s16, v17
	v_add_co_ci_u32_e64 v18, s1, s17, v18, s1
	s_delay_alu instid0(VALU_DEP_2) | instskip(NEXT) | instid1(VALU_DEP_1)
	v_add_co_u32 v17, s1, v17, v19
	v_add_co_ci_u32_e64 v18, s1, v18, v20, s1
	s_clause 0x3
	global_load_b128 v[20:23], v[17:18], off offset:128
	global_load_b128 v[28:31], v[17:18], off offset:144
	global_load_b128 v[39:42], v[17:18], off
	global_load_b128 v[43:46], v[17:18], off offset:16
	s_waitcnt vmcnt(3)
	v_mul_f32_e32 v17, v2, v20
	v_dual_mul_f32 v18, v1, v20 :: v_dual_mul_f32 v19, v4, v21
	v_dual_mul_f32 v20, v3, v21 :: v_dual_mul_f32 v21, v6, v22
	v_mul_f32_e32 v24, v7, v23
	v_dual_mul_f32 v22, v5, v22 :: v_dual_mul_f32 v25, v8, v23
	s_waitcnt vmcnt(2)
	v_dual_mul_f32 v27, v10, v28 :: v_dual_mul_f32 v36, v12, v29
	v_mul_f32_e32 v26, v9, v28
	v_dual_mul_f32 v28, v11, v29 :: v_dual_mul_f32 v47, v16, v31
	v_mul_f32_e32 v29, v14, v30
	v_mul_f32_e32 v30, v13, v30
	;; [unrolled: 1-line block ×3, first 2 shown]
	s_waitcnt vmcnt(1)
	v_fma_f32 v17, v1, v39, -v17
	v_fmac_f32_e32 v18, v2, v39
	v_fma_f32 v19, v3, v40, -v19
	v_fmac_f32_e32 v20, v4, v40
	;; [unrolled: 2-line block ×4, first 2 shown]
	s_waitcnt vmcnt(0)
	v_fma_f32 v25, v9, v43, -v27
	v_fmac_f32_e32 v26, v10, v43
	v_fma_f32 v27, v11, v44, -v36
	v_fmac_f32_e32 v28, v12, v44
	;; [unrolled: 2-line block ×4, first 2 shown]
	v_dual_mov_b32 v1, v17 :: v_dual_mov_b32 v2, v18
	v_dual_mov_b32 v3, v19 :: v_dual_mov_b32 v4, v20
	;; [unrolled: 1-line block ×8, first 2 shown]
	s_or_b32 exec_lo, exec_lo, s2
	s_and_saveexec_b32 s1, vcc_lo
	s_delay_alu instid0(SALU_CYCLE_1)
	s_xor_b32 s6, exec_lo, s1
	s_cbranch_execnz .LBB7_15
.LBB7_13:
	s_and_not1_saveexec_b32 s0, s6
	s_cbranch_execnz .LBB7_381
	s_branch .LBB7_446
.LBB7_14:
	s_or_b32 exec_lo, exec_lo, s2
	s_and_saveexec_b32 s1, vcc_lo
	s_waitcnt lgkmcnt(0)
	s_xor_b32 s6, exec_lo, s1
	s_cbranch_execz .LBB7_13
.LBB7_15:
	v_lshlrev_b64 v[17:18], 3, v[33:34]
	s_mov_b32 s7, exec_lo
	s_delay_alu instid0(VALU_DEP_1) | instskip(NEXT) | instid1(VALU_DEP_2)
	v_add_co_u32 v17, vcc_lo, s4, v17
	v_add_co_ci_u32_e32 v18, vcc_lo, s5, v18, vcc_lo
	global_load_b64 v[17:18], v[17:18], off
	s_waitcnt vmcnt(0)
	v_cmpx_lt_i64_e32 -1, v[17:18]
                                        ; implicit-def: $vgpr34
	s_cbranch_execz .LBB7_380
; %bb.16:
	s_ashr_i32 s16, s14, 31
	v_mov_b32_e32 v19, 0
	v_or_b32_e32 v20, s16, v18
	s_mov_b32 s8, s14
	s_delay_alu instid0(VALU_DEP_1) | instskip(SKIP_1) | instid1(SALU_CYCLE_1)
	v_cmp_ne_u64_e32 vcc_lo, 0, v[19:20]
                                        ; implicit-def: $vgpr19_vgpr20
	s_and_saveexec_b32 s1, vcc_lo
	s_xor_b32 s14, exec_lo, s1
	s_cbranch_execz .LBB7_18
; %bb.17:
	s_add_u32 s4, s8, s16
	s_mov_b32 s2, s16
	s_mov_b32 s3, s16
	s_addc_u32 s5, s16, s16
	s_delay_alu instid0(SALU_CYCLE_1) | instskip(NEXT) | instid1(SALU_CYCLE_1)
	s_xor_b64 s[4:5], s[4:5], s[2:3]
	v_cvt_f32_u32_e32 v19, s4
	v_cvt_f32_u32_e32 v20, s5
	s_sub_u32 s1, 0, s4
	s_subb_u32 s17, 0, s5
	s_delay_alu instid0(VALU_DEP_1) | instskip(NEXT) | instid1(VALU_DEP_1)
	v_fmamk_f32 v19, v20, 0x4f800000, v19
	v_rcp_f32_e32 v19, v19
	s_waitcnt_depctr 0xfff
	v_mul_f32_e32 v19, 0x5f7ffffc, v19
	s_delay_alu instid0(VALU_DEP_1) | instskip(NEXT) | instid1(VALU_DEP_1)
	v_mul_f32_e32 v20, 0x2f800000, v19
	v_trunc_f32_e32 v20, v20
	s_delay_alu instid0(VALU_DEP_1) | instskip(SKIP_1) | instid1(VALU_DEP_2)
	v_fmamk_f32 v19, v20, 0xcf800000, v19
	v_cvt_u32_f32_e32 v20, v20
	v_cvt_u32_f32_e32 v19, v19
	s_delay_alu instid0(VALU_DEP_2) | instskip(NEXT) | instid1(VALU_DEP_2)
	v_mul_lo_u32 v21, s1, v20
	v_mul_hi_u32 v22, s1, v19
	v_mul_lo_u32 v23, s17, v19
	s_delay_alu instid0(VALU_DEP_2) | instskip(SKIP_1) | instid1(VALU_DEP_2)
	v_add_nc_u32_e32 v21, v22, v21
	v_mul_lo_u32 v22, s1, v19
	v_add_nc_u32_e32 v21, v21, v23
	s_delay_alu instid0(VALU_DEP_2) | instskip(NEXT) | instid1(VALU_DEP_2)
	v_mul_hi_u32 v23, v19, v22
	v_mul_lo_u32 v24, v19, v21
	v_mul_hi_u32 v25, v19, v21
	v_mul_hi_u32 v26, v20, v22
	v_mul_lo_u32 v22, v20, v22
	v_mul_hi_u32 v27, v20, v21
	v_mul_lo_u32 v21, v20, v21
	v_add_co_u32 v23, vcc_lo, v23, v24
	v_add_co_ci_u32_e32 v24, vcc_lo, 0, v25, vcc_lo
	s_delay_alu instid0(VALU_DEP_2) | instskip(NEXT) | instid1(VALU_DEP_2)
	v_add_co_u32 v22, vcc_lo, v23, v22
	v_add_co_ci_u32_e32 v22, vcc_lo, v24, v26, vcc_lo
	v_add_co_ci_u32_e32 v23, vcc_lo, 0, v27, vcc_lo
	v_ashrrev_i32_e32 v26, 31, v18
	s_delay_alu instid0(VALU_DEP_3) | instskip(NEXT) | instid1(VALU_DEP_3)
	v_add_co_u32 v21, vcc_lo, v22, v21
	v_add_co_ci_u32_e32 v22, vcc_lo, 0, v23, vcc_lo
	s_delay_alu instid0(VALU_DEP_2) | instskip(NEXT) | instid1(VALU_DEP_2)
	v_add_co_u32 v19, vcc_lo, v19, v21
	v_add_co_ci_u32_e32 v20, vcc_lo, v20, v22, vcc_lo
	s_delay_alu instid0(VALU_DEP_2) | instskip(SKIP_1) | instid1(VALU_DEP_3)
	v_mul_hi_u32 v21, s1, v19
	v_mul_lo_u32 v23, s17, v19
	v_mul_lo_u32 v22, s1, v20
	s_delay_alu instid0(VALU_DEP_1) | instskip(SKIP_1) | instid1(VALU_DEP_2)
	v_add_nc_u32_e32 v21, v21, v22
	v_mul_lo_u32 v22, s1, v19
	v_add_nc_u32_e32 v21, v21, v23
	s_delay_alu instid0(VALU_DEP_2) | instskip(NEXT) | instid1(VALU_DEP_2)
	v_mul_hi_u32 v23, v19, v22
	v_mul_lo_u32 v24, v19, v21
	v_mul_hi_u32 v25, v19, v21
	v_mul_hi_u32 v27, v20, v22
	v_mul_lo_u32 v22, v20, v22
	v_mul_hi_u32 v28, v20, v21
	v_mul_lo_u32 v21, v20, v21
	v_add_co_u32 v23, vcc_lo, v23, v24
	v_add_co_ci_u32_e32 v24, vcc_lo, 0, v25, vcc_lo
	s_delay_alu instid0(VALU_DEP_2) | instskip(NEXT) | instid1(VALU_DEP_2)
	v_add_co_u32 v22, vcc_lo, v23, v22
	v_add_co_ci_u32_e32 v22, vcc_lo, v24, v27, vcc_lo
	v_add_co_ci_u32_e32 v23, vcc_lo, 0, v28, vcc_lo
	v_add_co_u32 v24, vcc_lo, v17, v26
	v_add_co_ci_u32_e32 v25, vcc_lo, v18, v26, vcc_lo
	s_delay_alu instid0(VALU_DEP_4) | instskip(NEXT) | instid1(VALU_DEP_4)
	v_add_co_u32 v21, vcc_lo, v22, v21
	v_add_co_ci_u32_e32 v22, vcc_lo, 0, v23, vcc_lo
	s_delay_alu instid0(VALU_DEP_4) | instskip(NEXT) | instid1(VALU_DEP_3)
	v_xor_b32_e32 v27, v24, v26
	v_add_co_u32 v23, vcc_lo, v19, v21
	s_delay_alu instid0(VALU_DEP_3) | instskip(SKIP_1) | instid1(VALU_DEP_3)
	v_add_co_ci_u32_e32 v28, vcc_lo, v20, v22, vcc_lo
	v_xor_b32_e32 v25, v25, v26
	v_mul_hi_u32 v29, v27, v23
	s_delay_alu instid0(VALU_DEP_3) | instskip(NEXT) | instid1(VALU_DEP_3)
	v_mad_u64_u32 v[19:20], null, v27, v28, 0
	v_mad_u64_u32 v[21:22], null, v25, v23, 0
	;; [unrolled: 1-line block ×3, first 2 shown]
	s_delay_alu instid0(VALU_DEP_3) | instskip(NEXT) | instid1(VALU_DEP_4)
	v_add_co_u32 v19, vcc_lo, v29, v19
	v_add_co_ci_u32_e32 v20, vcc_lo, 0, v20, vcc_lo
	s_delay_alu instid0(VALU_DEP_2) | instskip(NEXT) | instid1(VALU_DEP_2)
	v_add_co_u32 v19, vcc_lo, v19, v21
	v_add_co_ci_u32_e32 v19, vcc_lo, v20, v22, vcc_lo
	v_add_co_ci_u32_e32 v20, vcc_lo, 0, v24, vcc_lo
	s_delay_alu instid0(VALU_DEP_2) | instskip(NEXT) | instid1(VALU_DEP_2)
	v_add_co_u32 v21, vcc_lo, v19, v23
	v_add_co_ci_u32_e32 v22, vcc_lo, 0, v20, vcc_lo
	s_delay_alu instid0(VALU_DEP_2) | instskip(SKIP_1) | instid1(VALU_DEP_3)
	v_mul_lo_u32 v23, s5, v21
	v_mad_u64_u32 v[19:20], null, s4, v21, 0
	v_mul_lo_u32 v24, s4, v22
	s_delay_alu instid0(VALU_DEP_2) | instskip(NEXT) | instid1(VALU_DEP_2)
	v_sub_co_u32 v19, vcc_lo, v27, v19
	v_add3_u32 v20, v20, v24, v23
	s_delay_alu instid0(VALU_DEP_1) | instskip(NEXT) | instid1(VALU_DEP_1)
	v_sub_nc_u32_e32 v23, v25, v20
	v_subrev_co_ci_u32_e64 v23, s1, s5, v23, vcc_lo
	v_add_co_u32 v24, s1, v21, 2
	s_delay_alu instid0(VALU_DEP_1) | instskip(SKIP_3) | instid1(VALU_DEP_3)
	v_add_co_ci_u32_e64 v27, s1, 0, v22, s1
	v_sub_co_u32 v28, s1, v19, s4
	v_sub_co_ci_u32_e32 v20, vcc_lo, v25, v20, vcc_lo
	v_subrev_co_ci_u32_e64 v23, s1, 0, v23, s1
	v_cmp_le_u32_e32 vcc_lo, s4, v28
	s_delay_alu instid0(VALU_DEP_3) | instskip(SKIP_1) | instid1(VALU_DEP_4)
	v_cmp_eq_u32_e64 s1, s5, v20
	v_cndmask_b32_e64 v25, 0, -1, vcc_lo
	v_cmp_le_u32_e32 vcc_lo, s5, v23
	v_cndmask_b32_e64 v28, 0, -1, vcc_lo
	v_cmp_le_u32_e32 vcc_lo, s4, v19
	;; [unrolled: 2-line block ×3, first 2 shown]
	v_cndmask_b32_e64 v29, 0, -1, vcc_lo
	v_cmp_eq_u32_e32 vcc_lo, s5, v23
	s_delay_alu instid0(VALU_DEP_2) | instskip(SKIP_3) | instid1(VALU_DEP_3)
	v_cndmask_b32_e64 v19, v29, v19, s1
	v_cndmask_b32_e32 v23, v28, v25, vcc_lo
	v_add_co_u32 v25, vcc_lo, v21, 1
	v_add_co_ci_u32_e32 v28, vcc_lo, 0, v22, vcc_lo
	v_cmp_ne_u32_e32 vcc_lo, 0, v23
	s_delay_alu instid0(VALU_DEP_2) | instskip(SKIP_2) | instid1(VALU_DEP_3)
	v_dual_cndmask_b32 v20, v28, v27 :: v_dual_cndmask_b32 v23, v25, v24
	v_cmp_ne_u32_e32 vcc_lo, 0, v19
	v_xor_b32_e32 v19, s2, v26
	v_dual_cndmask_b32 v21, v21, v23 :: v_dual_cndmask_b32 v20, v22, v20
	v_xor_b32_e32 v22, s3, v26
	s_delay_alu instid0(VALU_DEP_2) | instskip(NEXT) | instid1(VALU_DEP_2)
	v_xor_b32_e32 v21, v21, v19
	v_xor_b32_e32 v20, v20, v22
	s_delay_alu instid0(VALU_DEP_2) | instskip(NEXT) | instid1(VALU_DEP_2)
	v_sub_co_u32 v19, vcc_lo, v21, v19
	v_sub_co_ci_u32_e32 v20, vcc_lo, v20, v22, vcc_lo
.LBB7_18:
	s_and_not1_saveexec_b32 s1, s14
	s_cbranch_execz .LBB7_20
; %bb.19:
	v_cvt_f32_u32_e32 v19, s8
	s_sub_i32 s2, 0, s8
	s_delay_alu instid0(VALU_DEP_1) | instskip(SKIP_2) | instid1(VALU_DEP_1)
	v_rcp_iflag_f32_e32 v19, v19
	s_waitcnt_depctr 0xfff
	v_mul_f32_e32 v19, 0x4f7ffffe, v19
	v_cvt_u32_f32_e32 v19, v19
	s_delay_alu instid0(VALU_DEP_1) | instskip(NEXT) | instid1(VALU_DEP_1)
	v_mul_lo_u32 v20, s2, v19
	v_mul_hi_u32 v20, v19, v20
	s_delay_alu instid0(VALU_DEP_1) | instskip(NEXT) | instid1(VALU_DEP_1)
	v_add_nc_u32_e32 v19, v19, v20
	v_mul_hi_u32 v19, v17, v19
	s_delay_alu instid0(VALU_DEP_1) | instskip(SKIP_1) | instid1(VALU_DEP_2)
	v_mul_lo_u32 v20, v19, s8
	v_add_nc_u32_e32 v21, 1, v19
	v_sub_nc_u32_e32 v20, v17, v20
	s_delay_alu instid0(VALU_DEP_1) | instskip(SKIP_1) | instid1(VALU_DEP_2)
	v_subrev_nc_u32_e32 v22, s8, v20
	v_cmp_le_u32_e32 vcc_lo, s8, v20
	v_dual_cndmask_b32 v20, v20, v22 :: v_dual_cndmask_b32 v19, v19, v21
	s_delay_alu instid0(VALU_DEP_1) | instskip(NEXT) | instid1(VALU_DEP_2)
	v_cmp_le_u32_e32 vcc_lo, s8, v20
	v_dual_mov_b32 v20, 0 :: v_dual_add_nc_u32 v21, 1, v19
	s_delay_alu instid0(VALU_DEP_1)
	v_cndmask_b32_e32 v19, v19, v21, vcc_lo
.LBB7_20:
	s_or_b32 exec_lo, exec_lo, s1
	v_and_b32_e32 v21, 0x7f800000, v1
	s_mov_b32 s1, exec_lo
                                        ; implicit-def: $vgpr34
	s_delay_alu instid0(VALU_DEP_1)
	v_cmpx_ne_u32_e32 0x7f800000, v21
	s_xor_b32 s1, exec_lo, s1
; %bb.21:
	v_bfe_u32 v21, v1, 16, 1
	s_delay_alu instid0(VALU_DEP_1)
	v_add3_u32 v34, v1, v21, 0x7fff
; %bb.22:
	s_and_not1_saveexec_b32 s1, s1
; %bb.23:
	v_and_b32_e32 v21, 0xffff, v1
	v_or_b32_e32 v22, 0x10000, v1
	s_delay_alu instid0(VALU_DEP_2) | instskip(NEXT) | instid1(VALU_DEP_2)
	v_cmp_eq_u32_e32 vcc_lo, 0, v21
	v_cndmask_b32_e32 v34, v22, v1, vcc_lo
; %bb.24:
	s_or_b32 exec_lo, exec_lo, s1
	v_and_b32_e32 v1, 0x7f800000, v2
	s_delay_alu instid0(VALU_DEP_2) | instskip(SKIP_1) | instid1(VALU_DEP_2)
	v_and_b32_e32 v36, 0xffff0000, v34
	s_mov_b32 s1, exec_lo
                                        ; implicit-def: $vgpr35
	v_cmpx_ne_u32_e32 0x7f800000, v1
	s_xor_b32 s1, exec_lo, s1
; %bb.25:
	v_bfe_u32 v1, v2, 16, 1
	s_delay_alu instid0(VALU_DEP_1)
	v_add3_u32 v35, v2, v1, 0x7fff
; %bb.26:
	s_and_not1_saveexec_b32 s1, s1
; %bb.27:
	v_and_b32_e32 v1, 0xffff, v2
	v_or_b32_e32 v21, 0x10000, v2
	s_delay_alu instid0(VALU_DEP_2) | instskip(NEXT) | instid1(VALU_DEP_2)
	v_cmp_eq_u32_e32 vcc_lo, 0, v1
	v_cndmask_b32_e32 v35, v21, v2, vcc_lo
; %bb.28:
	s_or_b32 exec_lo, exec_lo, s1
	v_and_b32_e32 v1, 0x7f800000, v3
	s_delay_alu instid0(VALU_DEP_2) | instskip(SKIP_1) | instid1(VALU_DEP_2)
	v_and_b32_e32 v33, 0xffff0000, v35
	s_mov_b32 s1, exec_lo
                                        ; implicit-def: $vgpr39
	v_cmpx_ne_u32_e32 0x7f800000, v1
	s_xor_b32 s1, exec_lo, s1
; %bb.29:
	v_bfe_u32 v1, v3, 16, 1
	s_delay_alu instid0(VALU_DEP_1)
	v_add3_u32 v39, v3, v1, 0x7fff
; %bb.30:
	s_and_not1_saveexec_b32 s1, s1
; %bb.31:
	v_and_b32_e32 v1, 0xffff, v3
	v_or_b32_e32 v2, 0x10000, v3
	s_delay_alu instid0(VALU_DEP_2) | instskip(NEXT) | instid1(VALU_DEP_2)
	v_cmp_eq_u32_e32 vcc_lo, 0, v1
	v_cndmask_b32_e32 v39, v2, v3, vcc_lo
; %bb.32:
	s_or_b32 exec_lo, exec_lo, s1
	v_and_b32_e32 v1, 0x7f800000, v4
	s_delay_alu instid0(VALU_DEP_2) | instskip(SKIP_1) | instid1(VALU_DEP_2)
	v_and_b32_e32 v32, 0xffff0000, v39
	s_mov_b32 s1, exec_lo
                                        ; implicit-def: $vgpr40
	v_cmpx_ne_u32_e32 0x7f800000, v1
	s_xor_b32 s1, exec_lo, s1
; %bb.33:
	v_bfe_u32 v1, v4, 16, 1
	s_delay_alu instid0(VALU_DEP_1)
	v_add3_u32 v40, v4, v1, 0x7fff
; %bb.34:
	s_and_not1_saveexec_b32 s1, s1
; %bb.35:
	v_and_b32_e32 v1, 0xffff, v4
	v_or_b32_e32 v2, 0x10000, v4
	s_delay_alu instid0(VALU_DEP_2) | instskip(NEXT) | instid1(VALU_DEP_2)
	v_cmp_eq_u32_e32 vcc_lo, 0, v1
	v_cndmask_b32_e32 v40, v2, v4, vcc_lo
; %bb.36:
	s_or_b32 exec_lo, exec_lo, s1
	v_and_b32_e32 v1, 0x7f800000, v5
	s_delay_alu instid0(VALU_DEP_2) | instskip(SKIP_1) | instid1(VALU_DEP_2)
	v_and_b32_e32 v31, 0xffff0000, v40
	s_mov_b32 s1, exec_lo
                                        ; implicit-def: $vgpr41
	v_cmpx_ne_u32_e32 0x7f800000, v1
	s_xor_b32 s1, exec_lo, s1
; %bb.37:
	v_bfe_u32 v1, v5, 16, 1
	s_delay_alu instid0(VALU_DEP_1)
	v_add3_u32 v41, v5, v1, 0x7fff
; %bb.38:
	s_and_not1_saveexec_b32 s1, s1
; %bb.39:
	v_and_b32_e32 v1, 0xffff, v5
	v_or_b32_e32 v2, 0x10000, v5
	s_delay_alu instid0(VALU_DEP_2) | instskip(NEXT) | instid1(VALU_DEP_2)
	v_cmp_eq_u32_e32 vcc_lo, 0, v1
	v_cndmask_b32_e32 v41, v2, v5, vcc_lo
; %bb.40:
	s_or_b32 exec_lo, exec_lo, s1
	v_and_b32_e32 v1, 0x7f800000, v6
	s_delay_alu instid0(VALU_DEP_2) | instskip(SKIP_1) | instid1(VALU_DEP_2)
	v_and_b32_e32 v30, 0xffff0000, v41
	s_mov_b32 s1, exec_lo
                                        ; implicit-def: $vgpr42
	v_cmpx_ne_u32_e32 0x7f800000, v1
	s_xor_b32 s1, exec_lo, s1
; %bb.41:
	v_bfe_u32 v1, v6, 16, 1
	s_delay_alu instid0(VALU_DEP_1)
	v_add3_u32 v42, v6, v1, 0x7fff
; %bb.42:
	s_and_not1_saveexec_b32 s1, s1
; %bb.43:
	v_and_b32_e32 v1, 0xffff, v6
	v_or_b32_e32 v2, 0x10000, v6
	s_delay_alu instid0(VALU_DEP_2) | instskip(NEXT) | instid1(VALU_DEP_2)
	v_cmp_eq_u32_e32 vcc_lo, 0, v1
	v_cndmask_b32_e32 v42, v2, v6, vcc_lo
; %bb.44:
	s_or_b32 exec_lo, exec_lo, s1
	v_and_b32_e32 v1, 0x7f800000, v7
	s_delay_alu instid0(VALU_DEP_2) | instskip(SKIP_1) | instid1(VALU_DEP_2)
	v_and_b32_e32 v29, 0xffff0000, v42
	s_mov_b32 s1, exec_lo
                                        ; implicit-def: $vgpr43
	v_cmpx_ne_u32_e32 0x7f800000, v1
	s_xor_b32 s1, exec_lo, s1
; %bb.45:
	v_bfe_u32 v1, v7, 16, 1
	s_delay_alu instid0(VALU_DEP_1)
	v_add3_u32 v43, v7, v1, 0x7fff
; %bb.46:
	s_and_not1_saveexec_b32 s1, s1
; %bb.47:
	v_and_b32_e32 v1, 0xffff, v7
	v_or_b32_e32 v2, 0x10000, v7
	s_delay_alu instid0(VALU_DEP_2) | instskip(NEXT) | instid1(VALU_DEP_2)
	v_cmp_eq_u32_e32 vcc_lo, 0, v1
	v_cndmask_b32_e32 v43, v2, v7, vcc_lo
; %bb.48:
	s_or_b32 exec_lo, exec_lo, s1
	v_and_b32_e32 v1, 0x7f800000, v8
	s_delay_alu instid0(VALU_DEP_2) | instskip(SKIP_1) | instid1(VALU_DEP_2)
	v_and_b32_e32 v26, 0xffff0000, v43
	s_mov_b32 s1, exec_lo
                                        ; implicit-def: $vgpr44
	v_cmpx_ne_u32_e32 0x7f800000, v1
	s_xor_b32 s1, exec_lo, s1
; %bb.49:
	v_bfe_u32 v1, v8, 16, 1
	s_delay_alu instid0(VALU_DEP_1)
	v_add3_u32 v44, v8, v1, 0x7fff
; %bb.50:
	s_and_not1_saveexec_b32 s1, s1
; %bb.51:
	v_and_b32_e32 v1, 0xffff, v8
	v_or_b32_e32 v2, 0x10000, v8
	s_delay_alu instid0(VALU_DEP_2) | instskip(NEXT) | instid1(VALU_DEP_2)
	v_cmp_eq_u32_e32 vcc_lo, 0, v1
	v_cndmask_b32_e32 v44, v2, v8, vcc_lo
; %bb.52:
	s_or_b32 exec_lo, exec_lo, s1
	v_and_b32_e32 v1, 0x7f800000, v9
	s_delay_alu instid0(VALU_DEP_2) | instskip(SKIP_1) | instid1(VALU_DEP_2)
	v_and_b32_e32 v28, 0xffff0000, v44
	s_mov_b32 s1, exec_lo
                                        ; implicit-def: $vgpr45
	v_cmpx_ne_u32_e32 0x7f800000, v1
	s_xor_b32 s1, exec_lo, s1
; %bb.53:
	v_bfe_u32 v1, v9, 16, 1
	s_delay_alu instid0(VALU_DEP_1)
	v_add3_u32 v45, v9, v1, 0x7fff
; %bb.54:
	s_and_not1_saveexec_b32 s1, s1
; %bb.55:
	v_and_b32_e32 v1, 0xffff, v9
	v_or_b32_e32 v2, 0x10000, v9
	s_delay_alu instid0(VALU_DEP_2) | instskip(NEXT) | instid1(VALU_DEP_2)
	v_cmp_eq_u32_e32 vcc_lo, 0, v1
	v_cndmask_b32_e32 v45, v2, v9, vcc_lo
; %bb.56:
	s_or_b32 exec_lo, exec_lo, s1
	v_and_b32_e32 v1, 0x7f800000, v10
	s_delay_alu instid0(VALU_DEP_2) | instskip(SKIP_1) | instid1(VALU_DEP_2)
	v_and_b32_e32 v27, 0xffff0000, v45
	s_mov_b32 s1, exec_lo
                                        ; implicit-def: $vgpr46
	v_cmpx_ne_u32_e32 0x7f800000, v1
	s_xor_b32 s1, exec_lo, s1
; %bb.57:
	v_bfe_u32 v1, v10, 16, 1
	s_delay_alu instid0(VALU_DEP_1)
	v_add3_u32 v46, v10, v1, 0x7fff
; %bb.58:
	s_and_not1_saveexec_b32 s1, s1
; %bb.59:
	v_and_b32_e32 v1, 0xffff, v10
	v_or_b32_e32 v2, 0x10000, v10
	s_delay_alu instid0(VALU_DEP_2) | instskip(NEXT) | instid1(VALU_DEP_2)
	v_cmp_eq_u32_e32 vcc_lo, 0, v1
	v_cndmask_b32_e32 v46, v2, v10, vcc_lo
; %bb.60:
	s_or_b32 exec_lo, exec_lo, s1
	v_and_b32_e32 v1, 0x7f800000, v11
	s_delay_alu instid0(VALU_DEP_2) | instskip(SKIP_1) | instid1(VALU_DEP_2)
	v_and_b32_e32 v25, 0xffff0000, v46
	s_mov_b32 s1, exec_lo
                                        ; implicit-def: $vgpr47
	v_cmpx_ne_u32_e32 0x7f800000, v1
	s_xor_b32 s1, exec_lo, s1
; %bb.61:
	v_bfe_u32 v1, v11, 16, 1
	s_delay_alu instid0(VALU_DEP_1)
	v_add3_u32 v47, v11, v1, 0x7fff
; %bb.62:
	s_and_not1_saveexec_b32 s1, s1
; %bb.63:
	v_and_b32_e32 v1, 0xffff, v11
	v_or_b32_e32 v2, 0x10000, v11
	s_delay_alu instid0(VALU_DEP_2) | instskip(NEXT) | instid1(VALU_DEP_2)
	v_cmp_eq_u32_e32 vcc_lo, 0, v1
	v_cndmask_b32_e32 v47, v2, v11, vcc_lo
; %bb.64:
	s_or_b32 exec_lo, exec_lo, s1
	v_and_b32_e32 v1, 0x7f800000, v12
	s_delay_alu instid0(VALU_DEP_2) | instskip(SKIP_1) | instid1(VALU_DEP_2)
	v_and_b32_e32 v24, 0xffff0000, v47
	s_mov_b32 s1, exec_lo
                                        ; implicit-def: $vgpr48
	v_cmpx_ne_u32_e32 0x7f800000, v1
	s_xor_b32 s1, exec_lo, s1
; %bb.65:
	v_bfe_u32 v1, v12, 16, 1
	s_delay_alu instid0(VALU_DEP_1)
	v_add3_u32 v48, v12, v1, 0x7fff
; %bb.66:
	s_and_not1_saveexec_b32 s1, s1
; %bb.67:
	v_and_b32_e32 v1, 0xffff, v12
	v_or_b32_e32 v2, 0x10000, v12
	s_delay_alu instid0(VALU_DEP_2) | instskip(NEXT) | instid1(VALU_DEP_2)
	v_cmp_eq_u32_e32 vcc_lo, 0, v1
	v_cndmask_b32_e32 v48, v2, v12, vcc_lo
; %bb.68:
	s_or_b32 exec_lo, exec_lo, s1
	v_and_b32_e32 v1, 0x7f800000, v13
	s_delay_alu instid0(VALU_DEP_2) | instskip(SKIP_1) | instid1(VALU_DEP_2)
	v_and_b32_e32 v23, 0xffff0000, v48
	s_mov_b32 s1, exec_lo
                                        ; implicit-def: $vgpr49
	v_cmpx_ne_u32_e32 0x7f800000, v1
	s_xor_b32 s1, exec_lo, s1
; %bb.69:
	v_bfe_u32 v1, v13, 16, 1
	s_delay_alu instid0(VALU_DEP_1)
	v_add3_u32 v49, v13, v1, 0x7fff
; %bb.70:
	s_and_not1_saveexec_b32 s1, s1
; %bb.71:
	v_and_b32_e32 v1, 0xffff, v13
	v_or_b32_e32 v2, 0x10000, v13
	s_delay_alu instid0(VALU_DEP_2) | instskip(NEXT) | instid1(VALU_DEP_2)
	v_cmp_eq_u32_e32 vcc_lo, 0, v1
	v_cndmask_b32_e32 v49, v2, v13, vcc_lo
; %bb.72:
	s_or_b32 exec_lo, exec_lo, s1
	v_and_b32_e32 v1, 0x7f800000, v14
	s_mov_b32 s1, exec_lo
                                        ; implicit-def: $vgpr50
	s_delay_alu instid0(VALU_DEP_1)
	v_cmpx_ne_u32_e32 0x7f800000, v1
	s_xor_b32 s1, exec_lo, s1
; %bb.73:
	v_bfe_u32 v1, v14, 16, 1
	s_delay_alu instid0(VALU_DEP_1)
	v_add3_u32 v50, v14, v1, 0x7fff
; %bb.74:
	s_and_not1_saveexec_b32 s1, s1
; %bb.75:
	v_and_b32_e32 v1, 0xffff, v14
	v_or_b32_e32 v2, 0x10000, v14
	s_delay_alu instid0(VALU_DEP_2) | instskip(NEXT) | instid1(VALU_DEP_2)
	v_cmp_eq_u32_e32 vcc_lo, 0, v1
	v_cndmask_b32_e32 v50, v2, v14, vcc_lo
; %bb.76:
	s_or_b32 exec_lo, exec_lo, s1
	v_and_b32_e32 v1, 0x7f800000, v15
	s_mov_b32 s1, exec_lo
                                        ; implicit-def: $vgpr51
	s_delay_alu instid0(VALU_DEP_1)
	v_cmpx_ne_u32_e32 0x7f800000, v1
	s_xor_b32 s1, exec_lo, s1
; %bb.77:
	v_bfe_u32 v1, v15, 16, 1
	s_delay_alu instid0(VALU_DEP_1)
	v_add3_u32 v51, v15, v1, 0x7fff
; %bb.78:
	s_and_not1_saveexec_b32 s1, s1
; %bb.79:
	v_and_b32_e32 v1, 0xffff, v15
	v_or_b32_e32 v2, 0x10000, v15
	s_delay_alu instid0(VALU_DEP_2) | instskip(NEXT) | instid1(VALU_DEP_2)
	v_cmp_eq_u32_e32 vcc_lo, 0, v1
	v_cndmask_b32_e32 v51, v2, v15, vcc_lo
; %bb.80:
	s_or_b32 exec_lo, exec_lo, s1
	v_and_b32_e32 v1, 0x7f800000, v16
	s_mov_b32 s1, exec_lo
                                        ; implicit-def: $vgpr52
	s_delay_alu instid0(VALU_DEP_1)
	v_cmpx_ne_u32_e32 0x7f800000, v1
	s_xor_b32 s1, exec_lo, s1
; %bb.81:
	v_bfe_u32 v1, v16, 16, 1
	s_delay_alu instid0(VALU_DEP_1)
	v_add3_u32 v52, v16, v1, 0x7fff
                                        ; implicit-def: $vgpr1_vgpr2_vgpr3_vgpr4_vgpr5_vgpr6_vgpr7_vgpr8_vgpr9_vgpr10_vgpr11_vgpr12_vgpr13_vgpr14_vgpr15_vgpr16
; %bb.82:
	s_and_not1_saveexec_b32 s1, s1
; %bb.83:
	v_and_b32_e32 v1, 0xffff, v16
	v_or_b32_e32 v2, 0x10000, v16
	s_delay_alu instid0(VALU_DEP_2) | instskip(NEXT) | instid1(VALU_DEP_2)
	v_cmp_eq_u32_e32 vcc_lo, 0, v1
	v_cndmask_b32_e32 v52, v2, v16, vcc_lo
; %bb.84:
	s_or_b32 exec_lo, exec_lo, s1
	v_max3_f32 v1, |v36|, 0, |v33|
	v_mbcnt_lo_u32_b32 v5, -1, 0
	v_and_b32_e32 v22, 0xffff0000, v49
	v_and_b32_e32 v16, 0xffff0000, v51
	v_mul_lo_u32 v6, v20, s8
	v_max3_f32 v1, v1, |v32|, |v31|
	v_xor_b32_e32 v2, 1, v5
	v_xor_b32_e32 v12, 2, v5
	v_mul_lo_u32 v8, v19, s16
	s_ashr_i32 s1, s15, 31
	v_max3_f32 v1, v1, |v30|, |v29|
	v_cmp_gt_i32_e32 vcc_lo, 32, v2
	v_and_b32_e32 v13, 0xffff0000, v52
	v_mad_u64_u32 v[3:4], null, v19, s15, s[10:11]
	s_delay_alu instid0(VALU_DEP_4)
	v_max3_f32 v1, v1, |v26|, |v28|
	v_cndmask_b32_e32 v2, v5, v2, vcc_lo
	v_cmp_gt_i32_e32 vcc_lo, 32, v12
	v_and_b32_e32 v21, 0xffff0000, v50
	v_mul_lo_u32 v10, v20, s15
	v_max3_f32 v1, v1, |v27|, |v25|
	v_mul_lo_u32 v11, v19, s1
	s_delay_alu instid0(VALU_DEP_2) | instskip(NEXT) | instid1(VALU_DEP_2)
	v_max3_f32 v1, v1, |v24|, |v23|
	v_add3_u32 v4, v10, v4, v11
	s_delay_alu instid0(VALU_DEP_2) | instskip(NEXT) | instid1(VALU_DEP_1)
	v_max3_f32 v1, v1, |v22|, |v21|
	v_max3_f32 v7, v1, |v16|, |v13|
	v_lshlrev_b32_e32 v2, 2, v2
	ds_bpermute_b32 v9, v2, v7
	v_mad_u64_u32 v[1:2], null, v19, s8, 0
	s_delay_alu instid0(VALU_DEP_1) | instskip(SKIP_1) | instid1(VALU_DEP_3)
	v_add3_u32 v2, v2, v8, v6
	v_cndmask_b32_e32 v8, v5, v12, vcc_lo
	v_sub_co_u32 v5, vcc_lo, v17, v1
	s_delay_alu instid0(VALU_DEP_3) | instskip(NEXT) | instid1(VALU_DEP_3)
	v_sub_co_ci_u32_e32 v6, vcc_lo, v18, v2, vcc_lo
	v_lshlrev_b32_e32 v8, 2, v8
	s_delay_alu instid0(VALU_DEP_3) | instskip(SKIP_2) | instid1(VALU_DEP_1)
	v_mad_u64_u32 v[1:2], null, 0x240, v5, v[3:4]
	s_waitcnt lgkmcnt(0)
	v_max_f32_e32 v9, v9, v9
	v_max_f32_e32 v7, v7, v9
	s_delay_alu instid0(VALU_DEP_3) | instskip(SKIP_3) | instid1(SALU_CYCLE_1)
	v_mad_u64_u32 v[9:10], null, 0x240, v6, v[2:3]
	ds_bpermute_b32 v8, v8, v7
	v_mov_b32_e32 v2, v9
	s_and_saveexec_b32 s1, s0
	s_xor_b32 s1, exec_lo, s1
	s_cbranch_execz .LBB7_378
; %bb.85:
	s_waitcnt lgkmcnt(0)
	v_max3_f32 v7, v7, v8, 0x38d1b717
	s_mov_b32 s0, 0xc3e00000
	s_delay_alu instid0(VALU_DEP_1) | instskip(SKIP_1) | instid1(VALU_DEP_2)
	v_div_scale_f32 v8, null, 0x43e00000, 0x43e00000, v7
	v_div_scale_f32 v11, vcc_lo, v7, 0x43e00000, v7
	v_rcp_f32_e32 v9, v8
	s_waitcnt_depctr 0xfff
	v_fma_f32 v10, -v8, v9, 1.0
	s_delay_alu instid0(VALU_DEP_1) | instskip(NEXT) | instid1(VALU_DEP_1)
	v_fmac_f32_e32 v9, v10, v9
	v_mul_f32_e32 v10, v11, v9
	s_delay_alu instid0(VALU_DEP_1) | instskip(NEXT) | instid1(VALU_DEP_1)
	v_fma_f32 v12, -v8, v10, v11
	v_fmac_f32_e32 v10, v12, v9
	s_delay_alu instid0(VALU_DEP_1) | instskip(NEXT) | instid1(VALU_DEP_1)
	v_fma_f32 v8, -v8, v10, v11
	v_div_fmas_f32 v8, v8, v9, v10
	s_delay_alu instid0(VALU_DEP_1) | instskip(NEXT) | instid1(VALU_DEP_1)
	v_div_fixup_f32 v7, v8, 0x43e00000, v7
	v_cmp_gt_f32_e32 vcc_lo, 0x800000, v7
	v_cndmask_b32_e64 v8, 1.0, 0x4f800000, vcc_lo
	s_delay_alu instid0(VALU_DEP_1) | instskip(SKIP_1) | instid1(VALU_DEP_2)
	v_mul_f32_e32 v7, v7, v8
	v_cndmask_b32_e64 v8, 0, 0x42000000, vcc_lo
	v_log_f32_e32 v7, v7
	s_waitcnt_depctr 0xfff
	v_sub_f32_e32 v7, v7, v8
	s_delay_alu instid0(VALU_DEP_1) | instskip(NEXT) | instid1(VALU_DEP_1)
	v_ceil_f32_e32 v11, v7
	v_cmp_lt_f32_e32 vcc_lo, 0x42fc0000, v11
	v_cndmask_b32_e64 v7, 0, 0x42800000, vcc_lo
	v_cndmask_b32_e64 v8, 1.0, 0x1f800000, vcc_lo
	s_delay_alu instid0(VALU_DEP_2) | instskip(NEXT) | instid1(VALU_DEP_1)
	v_sub_f32_e32 v7, v7, v11
	v_exp_f32_e32 v7, v7
	s_waitcnt_depctr 0xfff
	v_mul_f32_e32 v14, v7, v8
	s_delay_alu instid0(VALU_DEP_1) | instskip(NEXT) | instid1(VALU_DEP_1)
	v_dual_mov_b32 v8, 0 :: v_dual_mul_f32 v7, v14, v36
	v_mov_b32_e32 v18, v8
	s_delay_alu instid0(VALU_DEP_2) | instskip(SKIP_1) | instid1(VALU_DEP_1)
	v_maxmin_f32 v9, v7, s0, 0x43e00000
	s_mov_b32 s0, exec_lo
	v_lshrrev_b32_e32 v10, 24, v9
	v_and_b32_e32 v17, 0x7f800000, v9
	v_and_b32_e32 v7, 0x7fffff, v9
	s_delay_alu instid0(VALU_DEP_3) | instskip(NEXT) | instid1(VALU_DEP_1)
	v_and_b32_e32 v15, 0x80, v10
	v_or_b32_e32 v12, 0x7e, v15
	s_delay_alu instid0(VALU_DEP_4)
	v_cmpx_ne_u64_e32 0x7f800000, v[17:18]
	s_xor_b32 s2, exec_lo, s0
	s_cbranch_execz .LBB7_101
; %bb.86:
	v_dual_mov_b32 v18, v8 :: v_dual_and_b32 v17, 0x7fffffff, v9
	s_mov_b32 s0, exec_lo
	s_delay_alu instid0(VALU_DEP_1)
	v_cmpx_gt_u64_e32 0x43e00001, v[17:18]
	s_xor_b32 s3, exec_lo, s0
	s_cbranch_execz .LBB7_100
; %bb.87:
	v_mov_b32_e32 v12, 0
	s_mov_b32 s4, exec_lo
	v_cmpx_ne_u32_e32 0, v9
	s_cbranch_execz .LBB7_99
; %bb.88:
	v_bfe_u32 v12, v9, 23, 8
	v_or_b32_e32 v18, 0x800000, v7
	s_delay_alu instid0(VALU_DEP_2) | instskip(SKIP_1) | instid1(VALU_DEP_2)
	v_sub_nc_u32_e32 v9, 0x79, v12
	v_cmp_gt_u32_e32 vcc_lo, 0x7a, v12
	v_cndmask_b32_e32 v9, 0, v9, vcc_lo
	v_cmp_eq_u32_e32 vcc_lo, 0, v12
	s_delay_alu instid0(VALU_DEP_2) | instskip(NEXT) | instid1(VALU_DEP_1)
	v_cndmask_b32_e64 v17, v9, 0x78, vcc_lo
	v_dual_cndmask_b32 v7, v18, v7 :: v_dual_add_nc_u32 v18, 19, v17
	v_add_nc_u32_e32 v9, 20, v17
	s_delay_alu instid0(VALU_DEP_1) | instskip(NEXT) | instid1(VALU_DEP_1)
	v_lshlrev_b64 v[9:10], v9, -1
	v_not_b32_e32 v20, v9
	s_delay_alu instid0(VALU_DEP_2) | instskip(SKIP_1) | instid1(VALU_DEP_3)
	v_not_b32_e32 v19, v10
	v_lshlrev_b64 v[9:10], v18, 1
	v_and_b32_e32 v18, v7, v20
	v_lshrrev_b64 v[7:8], v17, v[7:8]
	s_delay_alu instid0(VALU_DEP_4) | instskip(NEXT) | instid1(VALU_DEP_1)
	v_and_b32_e32 v19, 0, v19
	v_cmp_eq_u64_e64 s0, v[18:19], v[9:10]
	s_delay_alu instid0(VALU_DEP_3) | instskip(NEXT) | instid1(VALU_DEP_2)
	v_dual_mov_b32 v10, v8 :: v_dual_mov_b32 v9, v7
	s_and_saveexec_b32 s5, s0
; %bb.89:
	v_bfe_u32 v9, v7, 20, 1
	s_delay_alu instid0(VALU_DEP_1) | instskip(NEXT) | instid1(VALU_DEP_1)
	v_add_co_u32 v9, s0, v7, v9
	v_add_co_u32 v9, s0, v9, -1
; %bb.90:
	s_or_b32 exec_lo, exec_lo, s5
	v_add_nc_u32_e32 v10, 0xffffff81, v12
	v_lshrrev_b32_e32 v12, 23, v7
	s_delay_alu instid0(VALU_DEP_3) | instskip(SKIP_1) | instid1(VALU_DEP_3)
	v_and_b32_e32 v9, 0xfffff, v9
	s_mov_b32 s0, exec_lo
	v_cndmask_b32_e64 v10, v10, 0xffffff82, vcc_lo
	s_delay_alu instid0(VALU_DEP_2) | instskip(SKIP_1) | instid1(VALU_DEP_3)
	v_add_co_u32 v7, vcc_lo, v9, v7
	v_add_co_ci_u32_e32 v8, vcc_lo, 0, v8, vcc_lo
	v_add3_u32 v10, v17, v10, v12
                                        ; implicit-def: $vgpr9
	s_delay_alu instid0(VALU_DEP_1) | instskip(NEXT) | instid1(VALU_DEP_1)
	v_add_nc_u32_e32 v12, 6, v10
	v_cmpx_ne_u32_e32 0, v12
	s_xor_b32 s0, exec_lo, s0
; %bb.91:
	v_cmp_lt_u64_e32 vcc_lo, 0xffffff, v[7:8]
	v_add_nc_u32_e32 v9, 7, v10
	v_cndmask_b32_e64 v10, 0, 1, vcc_lo
	s_delay_alu instid0(VALU_DEP_2) | instskip(NEXT) | instid1(VALU_DEP_2)
	v_cndmask_b32_e32 v9, v12, v9, vcc_lo
	v_lshrrev_b64 v[7:8], v10, v[7:8]
; %bb.92:
	s_and_not1_saveexec_b32 s0, s0
; %bb.93:
	s_delay_alu instid0(VALU_DEP_1)
	v_bfe_u32 v9, v7, 23, 1
; %bb.94:
	s_or_b32 exec_lo, exec_lo, s0
	s_delay_alu instid0(VALU_DEP_2) | instskip(NEXT) | instid1(VALU_DEP_2)
	v_lshrrev_b64 v[7:8], 20, v[7:8]
	v_cmp_gt_i32_e32 vcc_lo, 16, v9
	v_cmp_ne_u32_e64 s0, 0, v9
                                        ; implicit-def: $vgpr12
	s_delay_alu instid0(VALU_DEP_3) | instskip(NEXT) | instid1(VALU_DEP_1)
	v_dual_cndmask_b32 v8, 0, v8 :: v_dual_cndmask_b32 v7, 7, v7
	v_cmp_ne_u64_e32 vcc_lo, 0, v[7:8]
	s_delay_alu instid0(VALU_DEP_3) | instskip(NEXT) | instid1(SALU_CYCLE_1)
	s_or_b32 s0, s0, vcc_lo
	s_and_saveexec_b32 s5, s0
	s_delay_alu instid0(SALU_CYCLE_1)
	s_xor_b32 s0, exec_lo, s5
; %bb.95:
	v_min_i32_e32 v8, 15, v9
	s_delay_alu instid0(VALU_DEP_1) | instskip(NEXT) | instid1(VALU_DEP_1)
	v_lshl_or_b32 v8, v8, 3, v15
                                        ; implicit-def: $vgpr15
	v_and_or_b32 v12, v7, 7, v8
; %bb.96:
	s_and_not1_saveexec_b32 s0, s0
; %bb.97:
	v_mov_b32_e32 v12, v15
; %bb.98:
	s_or_b32 exec_lo, exec_lo, s0
.LBB7_99:
	s_delay_alu instid0(SALU_CYCLE_1)
	s_or_b32 exec_lo, exec_lo, s4
.LBB7_100:
	s_and_not1_saveexec_b32 s0, s3
	s_delay_alu instid0(SALU_CYCLE_1)
	s_or_b32 exec_lo, exec_lo, s0
                                        ; implicit-def: $vgpr10
                                        ; implicit-def: $vgpr7_vgpr8
.LBB7_101:
	s_and_not1_saveexec_b32 s0, s2
; %bb.102:
	v_cmp_eq_u64_e32 vcc_lo, 0, v[7:8]
	v_or_b32_e32 v9, 0x7f, v10
	s_delay_alu instid0(VALU_DEP_1)
	v_cndmask_b32_e32 v12, v9, v12, vcc_lo
; %bb.103:
	s_or_b32 exec_lo, exec_lo, s0
	v_dual_mul_f32 v7, v14, v33 :: v_dual_mov_b32 v8, 0
	s_mov_b32 s0, 0xc3e00000
	s_delay_alu instid0(VALU_DEP_1) | instid1(SALU_CYCLE_1)
	v_maxmin_f32 v9, v7, s0, 0x43e00000
	s_mov_b32 s0, exec_lo
	s_delay_alu instid0(VALU_DEP_2) | instskip(NEXT) | instid1(VALU_DEP_2)
	v_mov_b32_e32 v19, v8
	v_lshrrev_b32_e32 v10, 24, v9
	v_and_b32_e32 v18, 0x7f800000, v9
	v_and_b32_e32 v7, 0x7fffff, v9
	s_delay_alu instid0(VALU_DEP_3) | instskip(NEXT) | instid1(VALU_DEP_1)
	v_and_b32_e32 v17, 0x80, v10
	v_or_b32_e32 v15, 0x7e, v17
	s_delay_alu instid0(VALU_DEP_4)
	v_cmpx_ne_u64_e32 0x7f800000, v[18:19]
	s_xor_b32 s2, exec_lo, s0
	s_cbranch_execz .LBB7_119
; %bb.104:
	v_dual_mov_b32 v19, v8 :: v_dual_and_b32 v18, 0x7fffffff, v9
	s_mov_b32 s0, exec_lo
	s_delay_alu instid0(VALU_DEP_1)
	v_cmpx_gt_u64_e32 0x43e00001, v[18:19]
	s_xor_b32 s3, exec_lo, s0
	s_cbranch_execz .LBB7_118
; %bb.105:
	v_mov_b32_e32 v15, 0
	s_mov_b32 s4, exec_lo
	v_cmpx_ne_u32_e32 0, v9
	s_cbranch_execz .LBB7_117
; %bb.106:
	v_bfe_u32 v15, v9, 23, 8
	v_or_b32_e32 v19, 0x800000, v7
	s_delay_alu instid0(VALU_DEP_2) | instskip(SKIP_1) | instid1(VALU_DEP_2)
	v_sub_nc_u32_e32 v9, 0x79, v15
	v_cmp_gt_u32_e32 vcc_lo, 0x7a, v15
	v_cndmask_b32_e32 v9, 0, v9, vcc_lo
	v_cmp_eq_u32_e32 vcc_lo, 0, v15
	s_delay_alu instid0(VALU_DEP_2) | instskip(SKIP_1) | instid1(VALU_DEP_2)
	v_cndmask_b32_e64 v18, v9, 0x78, vcc_lo
	v_cndmask_b32_e32 v7, v19, v7, vcc_lo
	v_add_nc_u32_e32 v9, 20, v18
	v_add_nc_u32_e32 v19, 19, v18
	s_delay_alu instid0(VALU_DEP_2) | instskip(NEXT) | instid1(VALU_DEP_1)
	v_lshlrev_b64 v[9:10], v9, -1
	v_not_b32_e32 v33, v9
	s_delay_alu instid0(VALU_DEP_2) | instskip(NEXT) | instid1(VALU_DEP_4)
	v_not_b32_e32 v20, v10
	v_lshlrev_b64 v[9:10], v19, 1
	s_delay_alu instid0(VALU_DEP_3) | instskip(SKIP_1) | instid1(VALU_DEP_4)
	v_and_b32_e32 v19, v7, v33
	v_lshrrev_b64 v[7:8], v18, v[7:8]
	v_and_b32_e32 v20, 0, v20
	s_delay_alu instid0(VALU_DEP_1) | instskip(NEXT) | instid1(VALU_DEP_3)
	v_cmp_eq_u64_e64 s0, v[19:20], v[9:10]
	v_dual_mov_b32 v10, v8 :: v_dual_mov_b32 v9, v7
	s_delay_alu instid0(VALU_DEP_2)
	s_and_saveexec_b32 s5, s0
; %bb.107:
	v_bfe_u32 v9, v7, 20, 1
	s_delay_alu instid0(VALU_DEP_1) | instskip(NEXT) | instid1(VALU_DEP_1)
	v_add_co_u32 v9, s0, v7, v9
	v_add_co_u32 v9, s0, v9, -1
; %bb.108:
	s_or_b32 exec_lo, exec_lo, s5
	v_add_nc_u32_e32 v10, 0xffffff81, v15
	v_lshrrev_b32_e32 v15, 23, v7
	s_delay_alu instid0(VALU_DEP_3) | instskip(SKIP_1) | instid1(VALU_DEP_3)
	v_and_b32_e32 v9, 0xfffff, v9
	s_mov_b32 s0, exec_lo
	v_cndmask_b32_e64 v10, v10, 0xffffff82, vcc_lo
	s_delay_alu instid0(VALU_DEP_2) | instskip(SKIP_1) | instid1(VALU_DEP_3)
	v_add_co_u32 v7, vcc_lo, v9, v7
	v_add_co_ci_u32_e32 v8, vcc_lo, 0, v8, vcc_lo
	v_add3_u32 v10, v18, v10, v15
                                        ; implicit-def: $vgpr9
	s_delay_alu instid0(VALU_DEP_1) | instskip(NEXT) | instid1(VALU_DEP_1)
	v_add_nc_u32_e32 v15, 6, v10
	v_cmpx_ne_u32_e32 0, v15
	s_xor_b32 s0, exec_lo, s0
; %bb.109:
	v_cmp_lt_u64_e32 vcc_lo, 0xffffff, v[7:8]
	v_add_nc_u32_e32 v9, 7, v10
	v_cndmask_b32_e64 v10, 0, 1, vcc_lo
	s_delay_alu instid0(VALU_DEP_2) | instskip(NEXT) | instid1(VALU_DEP_2)
	v_cndmask_b32_e32 v9, v15, v9, vcc_lo
	v_lshrrev_b64 v[7:8], v10, v[7:8]
; %bb.110:
	s_and_not1_saveexec_b32 s0, s0
; %bb.111:
	s_delay_alu instid0(VALU_DEP_1)
	v_bfe_u32 v9, v7, 23, 1
; %bb.112:
	s_or_b32 exec_lo, exec_lo, s0
	s_delay_alu instid0(VALU_DEP_2) | instskip(NEXT) | instid1(VALU_DEP_2)
	v_lshrrev_b64 v[7:8], 20, v[7:8]
	v_cmp_gt_i32_e32 vcc_lo, 16, v9
	v_cmp_ne_u32_e64 s0, 0, v9
                                        ; implicit-def: $vgpr15
	s_delay_alu instid0(VALU_DEP_3) | instskip(NEXT) | instid1(VALU_DEP_1)
	v_dual_cndmask_b32 v8, 0, v8 :: v_dual_cndmask_b32 v7, 7, v7
	v_cmp_ne_u64_e32 vcc_lo, 0, v[7:8]
	s_delay_alu instid0(VALU_DEP_3) | instskip(NEXT) | instid1(SALU_CYCLE_1)
	s_or_b32 s0, s0, vcc_lo
	s_and_saveexec_b32 s5, s0
	s_delay_alu instid0(SALU_CYCLE_1)
	s_xor_b32 s0, exec_lo, s5
; %bb.113:
	v_min_i32_e32 v8, 15, v9
	s_delay_alu instid0(VALU_DEP_1) | instskip(NEXT) | instid1(VALU_DEP_1)
	v_lshl_or_b32 v8, v8, 3, v17
                                        ; implicit-def: $vgpr17
	v_and_or_b32 v15, v7, 7, v8
; %bb.114:
	s_and_not1_saveexec_b32 s0, s0
; %bb.115:
	v_mov_b32_e32 v15, v17
; %bb.116:
	s_or_b32 exec_lo, exec_lo, s0
.LBB7_117:
	s_delay_alu instid0(SALU_CYCLE_1)
	s_or_b32 exec_lo, exec_lo, s4
.LBB7_118:
	s_and_not1_saveexec_b32 s0, s3
	s_delay_alu instid0(SALU_CYCLE_1)
	s_or_b32 exec_lo, exec_lo, s0
                                        ; implicit-def: $vgpr10
                                        ; implicit-def: $vgpr7_vgpr8
.LBB7_119:
	s_and_not1_saveexec_b32 s0, s2
; %bb.120:
	v_cmp_eq_u64_e32 vcc_lo, 0, v[7:8]
	v_or_b32_e32 v9, 0x7f, v10
	s_delay_alu instid0(VALU_DEP_1)
	v_cndmask_b32_e32 v15, v9, v15, vcc_lo
; %bb.121:
	s_or_b32 exec_lo, exec_lo, s0
	v_dual_mul_f32 v7, v14, v32 :: v_dual_mov_b32 v8, 0
	s_mov_b32 s0, 0xc3e00000
	s_delay_alu instid0(VALU_DEP_1) | instid1(SALU_CYCLE_1)
	v_maxmin_f32 v9, v7, s0, 0x43e00000
	s_mov_b32 s0, exec_lo
	s_delay_alu instid0(VALU_DEP_2) | instskip(NEXT) | instid1(VALU_DEP_2)
	v_mov_b32_e32 v20, v8
	v_lshrrev_b32_e32 v10, 24, v9
	v_and_b32_e32 v19, 0x7f800000, v9
	v_and_b32_e32 v7, 0x7fffff, v9
	s_delay_alu instid0(VALU_DEP_3) | instskip(NEXT) | instid1(VALU_DEP_1)
	v_and_b32_e32 v18, 0x80, v10
	v_or_b32_e32 v17, 0x7e, v18
	s_delay_alu instid0(VALU_DEP_4)
	v_cmpx_ne_u64_e32 0x7f800000, v[19:20]
	s_xor_b32 s2, exec_lo, s0
	s_cbranch_execz .LBB7_137
; %bb.122:
	v_dual_mov_b32 v20, v8 :: v_dual_and_b32 v19, 0x7fffffff, v9
	s_mov_b32 s0, exec_lo
	s_delay_alu instid0(VALU_DEP_1)
	v_cmpx_gt_u64_e32 0x43e00001, v[19:20]
	s_xor_b32 s3, exec_lo, s0
	s_cbranch_execz .LBB7_136
; %bb.123:
	v_mov_b32_e32 v17, 0
	s_mov_b32 s4, exec_lo
	v_cmpx_ne_u32_e32 0, v9
	s_cbranch_execz .LBB7_135
; %bb.124:
	v_bfe_u32 v17, v9, 23, 8
	v_or_b32_e32 v20, 0x800000, v7
	s_delay_alu instid0(VALU_DEP_2) | instskip(SKIP_1) | instid1(VALU_DEP_2)
	v_sub_nc_u32_e32 v9, 0x79, v17
	v_cmp_gt_u32_e32 vcc_lo, 0x7a, v17
	v_cndmask_b32_e32 v9, 0, v9, vcc_lo
	v_cmp_eq_u32_e32 vcc_lo, 0, v17
	s_delay_alu instid0(VALU_DEP_2) | instskip(SKIP_1) | instid1(VALU_DEP_2)
	v_cndmask_b32_e64 v19, v9, 0x78, vcc_lo
	v_cndmask_b32_e32 v7, v20, v7, vcc_lo
	v_add_nc_u32_e32 v20, 19, v19
	v_add_nc_u32_e32 v9, 20, v19
	s_delay_alu instid0(VALU_DEP_1) | instskip(NEXT) | instid1(VALU_DEP_1)
	v_lshlrev_b64 v[9:10], v9, -1
	v_not_b32_e32 v32, v10
	s_delay_alu instid0(VALU_DEP_2) | instskip(SKIP_1) | instid1(VALU_DEP_3)
	v_not_b32_e32 v34, v9
	v_lshlrev_b64 v[9:10], v20, 1
	v_and_b32_e32 v33, 0, v32
	s_delay_alu instid0(VALU_DEP_3) | instskip(SKIP_1) | instid1(VALU_DEP_2)
	v_and_b32_e32 v32, v7, v34
	v_lshrrev_b64 v[7:8], v19, v[7:8]
	v_cmp_eq_u64_e64 s0, v[32:33], v[9:10]
	s_delay_alu instid0(VALU_DEP_2) | instskip(NEXT) | instid1(VALU_DEP_2)
	v_dual_mov_b32 v10, v8 :: v_dual_mov_b32 v9, v7
	s_and_saveexec_b32 s5, s0
; %bb.125:
	v_bfe_u32 v9, v7, 20, 1
	s_delay_alu instid0(VALU_DEP_1) | instskip(NEXT) | instid1(VALU_DEP_1)
	v_add_co_u32 v9, s0, v7, v9
	v_add_co_u32 v9, s0, v9, -1
; %bb.126:
	s_or_b32 exec_lo, exec_lo, s5
	v_add_nc_u32_e32 v10, 0xffffff81, v17
	v_lshrrev_b32_e32 v17, 23, v7
	s_delay_alu instid0(VALU_DEP_3) | instskip(SKIP_1) | instid1(VALU_DEP_3)
	v_and_b32_e32 v9, 0xfffff, v9
	s_mov_b32 s0, exec_lo
	v_cndmask_b32_e64 v10, v10, 0xffffff82, vcc_lo
	s_delay_alu instid0(VALU_DEP_2) | instskip(SKIP_1) | instid1(VALU_DEP_3)
	v_add_co_u32 v7, vcc_lo, v9, v7
	v_add_co_ci_u32_e32 v8, vcc_lo, 0, v8, vcc_lo
	v_add3_u32 v10, v19, v10, v17
                                        ; implicit-def: $vgpr9
	s_delay_alu instid0(VALU_DEP_1) | instskip(NEXT) | instid1(VALU_DEP_1)
	v_add_nc_u32_e32 v17, 6, v10
	v_cmpx_ne_u32_e32 0, v17
	s_xor_b32 s0, exec_lo, s0
; %bb.127:
	v_cmp_lt_u64_e32 vcc_lo, 0xffffff, v[7:8]
	v_add_nc_u32_e32 v9, 7, v10
	v_cndmask_b32_e64 v10, 0, 1, vcc_lo
	s_delay_alu instid0(VALU_DEP_2) | instskip(NEXT) | instid1(VALU_DEP_2)
	v_cndmask_b32_e32 v9, v17, v9, vcc_lo
	v_lshrrev_b64 v[7:8], v10, v[7:8]
; %bb.128:
	s_and_not1_saveexec_b32 s0, s0
; %bb.129:
	s_delay_alu instid0(VALU_DEP_1)
	v_bfe_u32 v9, v7, 23, 1
; %bb.130:
	s_or_b32 exec_lo, exec_lo, s0
	s_delay_alu instid0(VALU_DEP_2) | instskip(NEXT) | instid1(VALU_DEP_2)
	v_lshrrev_b64 v[7:8], 20, v[7:8]
	v_cmp_gt_i32_e32 vcc_lo, 16, v9
	v_cmp_ne_u32_e64 s0, 0, v9
                                        ; implicit-def: $vgpr17
	s_delay_alu instid0(VALU_DEP_3) | instskip(NEXT) | instid1(VALU_DEP_1)
	v_dual_cndmask_b32 v8, 0, v8 :: v_dual_cndmask_b32 v7, 7, v7
	v_cmp_ne_u64_e32 vcc_lo, 0, v[7:8]
	s_delay_alu instid0(VALU_DEP_3) | instskip(NEXT) | instid1(SALU_CYCLE_1)
	s_or_b32 s0, s0, vcc_lo
	s_and_saveexec_b32 s5, s0
	s_delay_alu instid0(SALU_CYCLE_1)
	s_xor_b32 s0, exec_lo, s5
; %bb.131:
	v_min_i32_e32 v8, 15, v9
	s_delay_alu instid0(VALU_DEP_1) | instskip(NEXT) | instid1(VALU_DEP_1)
	v_lshl_or_b32 v8, v8, 3, v18
                                        ; implicit-def: $vgpr18
	v_and_or_b32 v17, v7, 7, v8
; %bb.132:
	s_and_not1_saveexec_b32 s0, s0
; %bb.133:
	v_mov_b32_e32 v17, v18
; %bb.134:
	s_or_b32 exec_lo, exec_lo, s0
.LBB7_135:
	s_delay_alu instid0(SALU_CYCLE_1)
	s_or_b32 exec_lo, exec_lo, s4
.LBB7_136:
	s_and_not1_saveexec_b32 s0, s3
	s_delay_alu instid0(SALU_CYCLE_1)
	s_or_b32 exec_lo, exec_lo, s0
                                        ; implicit-def: $vgpr10
                                        ; implicit-def: $vgpr7_vgpr8
.LBB7_137:
	s_and_not1_saveexec_b32 s0, s2
; %bb.138:
	v_cmp_eq_u64_e32 vcc_lo, 0, v[7:8]
	v_or_b32_e32 v9, 0x7f, v10
	s_delay_alu instid0(VALU_DEP_1)
	v_cndmask_b32_e32 v17, v9, v17, vcc_lo
; %bb.139:
	s_or_b32 exec_lo, exec_lo, s0
	v_dual_mul_f32 v7, v14, v31 :: v_dual_mov_b32 v8, 0
	s_mov_b32 s0, 0xc3e00000
	s_delay_alu instid0(VALU_DEP_1) | instid1(SALU_CYCLE_1)
	v_maxmin_f32 v9, v7, s0, 0x43e00000
	s_mov_b32 s0, exec_lo
	s_delay_alu instid0(VALU_DEP_2) | instskip(NEXT) | instid1(VALU_DEP_2)
	v_mov_b32_e32 v32, v8
	v_lshrrev_b32_e32 v10, 24, v9
	v_and_b32_e32 v31, 0x7f800000, v9
	v_and_b32_e32 v7, 0x7fffff, v9
	s_delay_alu instid0(VALU_DEP_3) | instskip(NEXT) | instid1(VALU_DEP_1)
	v_and_b32_e32 v19, 0x80, v10
	v_or_b32_e32 v18, 0x7e, v19
	s_delay_alu instid0(VALU_DEP_4)
	v_cmpx_ne_u64_e32 0x7f800000, v[31:32]
	s_xor_b32 s2, exec_lo, s0
	s_cbranch_execz .LBB7_155
; %bb.140:
	v_dual_mov_b32 v32, v8 :: v_dual_and_b32 v31, 0x7fffffff, v9
	s_mov_b32 s0, exec_lo
	s_delay_alu instid0(VALU_DEP_1)
	v_cmpx_gt_u64_e32 0x43e00001, v[31:32]
	s_xor_b32 s3, exec_lo, s0
	s_cbranch_execz .LBB7_154
; %bb.141:
	v_mov_b32_e32 v18, 0
	s_mov_b32 s4, exec_lo
	v_cmpx_ne_u32_e32 0, v9
	s_cbranch_execz .LBB7_153
; %bb.142:
	v_bfe_u32 v18, v9, 23, 8
	v_or_b32_e32 v31, 0x800000, v7
	s_delay_alu instid0(VALU_DEP_2) | instskip(SKIP_1) | instid1(VALU_DEP_2)
	v_sub_nc_u32_e32 v9, 0x79, v18
	v_cmp_gt_u32_e32 vcc_lo, 0x7a, v18
	v_cndmask_b32_e32 v9, 0, v9, vcc_lo
	v_cmp_eq_u32_e32 vcc_lo, 0, v18
	s_delay_alu instid0(VALU_DEP_2) | instskip(SKIP_1) | instid1(VALU_DEP_2)
	v_cndmask_b32_e64 v20, v9, 0x78, vcc_lo
	v_cndmask_b32_e32 v7, v31, v7, vcc_lo
	v_add_nc_u32_e32 v9, 20, v20
	v_add_nc_u32_e32 v31, 19, v20
	s_delay_alu instid0(VALU_DEP_2) | instskip(NEXT) | instid1(VALU_DEP_1)
	v_lshlrev_b64 v[9:10], v9, -1
	v_not_b32_e32 v33, v9
	s_delay_alu instid0(VALU_DEP_2) | instskip(NEXT) | instid1(VALU_DEP_4)
	v_not_b32_e32 v32, v10
	v_lshlrev_b64 v[9:10], v31, 1
	s_delay_alu instid0(VALU_DEP_3) | instskip(SKIP_1) | instid1(VALU_DEP_4)
	v_and_b32_e32 v31, v7, v33
	v_lshrrev_b64 v[7:8], v20, v[7:8]
	v_and_b32_e32 v32, 0, v32
	s_delay_alu instid0(VALU_DEP_1) | instskip(NEXT) | instid1(VALU_DEP_3)
	v_cmp_eq_u64_e64 s0, v[31:32], v[9:10]
	v_dual_mov_b32 v10, v8 :: v_dual_mov_b32 v9, v7
	s_delay_alu instid0(VALU_DEP_2)
	s_and_saveexec_b32 s5, s0
; %bb.143:
	v_bfe_u32 v9, v7, 20, 1
	s_delay_alu instid0(VALU_DEP_1) | instskip(NEXT) | instid1(VALU_DEP_1)
	v_add_co_u32 v9, s0, v7, v9
	v_add_co_u32 v9, s0, v9, -1
; %bb.144:
	s_or_b32 exec_lo, exec_lo, s5
	v_add_nc_u32_e32 v10, 0xffffff81, v18
	v_lshrrev_b32_e32 v18, 23, v7
	s_delay_alu instid0(VALU_DEP_3) | instskip(SKIP_1) | instid1(VALU_DEP_3)
	v_and_b32_e32 v9, 0xfffff, v9
	s_mov_b32 s0, exec_lo
	v_cndmask_b32_e64 v10, v10, 0xffffff82, vcc_lo
	s_delay_alu instid0(VALU_DEP_2) | instskip(SKIP_1) | instid1(VALU_DEP_3)
	v_add_co_u32 v7, vcc_lo, v9, v7
	v_add_co_ci_u32_e32 v8, vcc_lo, 0, v8, vcc_lo
	v_add3_u32 v10, v20, v10, v18
                                        ; implicit-def: $vgpr9
	s_delay_alu instid0(VALU_DEP_1) | instskip(NEXT) | instid1(VALU_DEP_1)
	v_add_nc_u32_e32 v18, 6, v10
	v_cmpx_ne_u32_e32 0, v18
	s_xor_b32 s0, exec_lo, s0
; %bb.145:
	v_cmp_lt_u64_e32 vcc_lo, 0xffffff, v[7:8]
	v_add_nc_u32_e32 v9, 7, v10
	v_cndmask_b32_e64 v10, 0, 1, vcc_lo
	s_delay_alu instid0(VALU_DEP_2) | instskip(NEXT) | instid1(VALU_DEP_2)
	v_cndmask_b32_e32 v9, v18, v9, vcc_lo
	v_lshrrev_b64 v[7:8], v10, v[7:8]
; %bb.146:
	s_and_not1_saveexec_b32 s0, s0
; %bb.147:
	s_delay_alu instid0(VALU_DEP_1)
	v_bfe_u32 v9, v7, 23, 1
; %bb.148:
	s_or_b32 exec_lo, exec_lo, s0
	s_delay_alu instid0(VALU_DEP_2) | instskip(NEXT) | instid1(VALU_DEP_2)
	v_lshrrev_b64 v[7:8], 20, v[7:8]
	v_cmp_gt_i32_e32 vcc_lo, 16, v9
	v_cmp_ne_u32_e64 s0, 0, v9
                                        ; implicit-def: $vgpr18
	s_delay_alu instid0(VALU_DEP_3) | instskip(NEXT) | instid1(VALU_DEP_1)
	v_dual_cndmask_b32 v8, 0, v8 :: v_dual_cndmask_b32 v7, 7, v7
	v_cmp_ne_u64_e32 vcc_lo, 0, v[7:8]
	s_delay_alu instid0(VALU_DEP_3) | instskip(NEXT) | instid1(SALU_CYCLE_1)
	s_or_b32 s0, s0, vcc_lo
	s_and_saveexec_b32 s5, s0
	s_delay_alu instid0(SALU_CYCLE_1)
	s_xor_b32 s0, exec_lo, s5
; %bb.149:
	v_min_i32_e32 v8, 15, v9
	s_delay_alu instid0(VALU_DEP_1) | instskip(NEXT) | instid1(VALU_DEP_1)
	v_lshl_or_b32 v8, v8, 3, v19
                                        ; implicit-def: $vgpr19
	v_and_or_b32 v18, v7, 7, v8
; %bb.150:
	s_and_not1_saveexec_b32 s0, s0
; %bb.151:
	v_mov_b32_e32 v18, v19
; %bb.152:
	s_or_b32 exec_lo, exec_lo, s0
.LBB7_153:
	s_delay_alu instid0(SALU_CYCLE_1)
	s_or_b32 exec_lo, exec_lo, s4
.LBB7_154:
	s_and_not1_saveexec_b32 s0, s3
	s_delay_alu instid0(SALU_CYCLE_1)
	s_or_b32 exec_lo, exec_lo, s0
                                        ; implicit-def: $vgpr10
                                        ; implicit-def: $vgpr7_vgpr8
.LBB7_155:
	s_and_not1_saveexec_b32 s0, s2
; %bb.156:
	v_cmp_eq_u64_e32 vcc_lo, 0, v[7:8]
	v_or_b32_e32 v9, 0x7f, v10
	s_delay_alu instid0(VALU_DEP_1)
	v_cndmask_b32_e32 v18, v9, v18, vcc_lo
; %bb.157:
	s_or_b32 exec_lo, exec_lo, s0
	v_dual_mul_f32 v7, v14, v30 :: v_dual_mov_b32 v8, 0
	s_mov_b32 s0, 0xc3e00000
	s_delay_alu instid0(VALU_DEP_1) | instid1(SALU_CYCLE_1)
	v_maxmin_f32 v9, v7, s0, 0x43e00000
	s_mov_b32 s0, exec_lo
	s_delay_alu instid0(VALU_DEP_2) | instskip(NEXT) | instid1(VALU_DEP_2)
	v_mov_b32_e32 v31, v8
	v_lshrrev_b32_e32 v10, 24, v9
	v_and_b32_e32 v30, 0x7f800000, v9
	v_and_b32_e32 v7, 0x7fffff, v9
	s_delay_alu instid0(VALU_DEP_3) | instskip(NEXT) | instid1(VALU_DEP_1)
	v_and_b32_e32 v20, 0x80, v10
	v_or_b32_e32 v19, 0x7e, v20
	s_delay_alu instid0(VALU_DEP_4)
	v_cmpx_ne_u64_e32 0x7f800000, v[30:31]
	s_xor_b32 s2, exec_lo, s0
	s_cbranch_execz .LBB7_173
; %bb.158:
	v_dual_mov_b32 v31, v8 :: v_dual_and_b32 v30, 0x7fffffff, v9
	s_mov_b32 s0, exec_lo
	s_delay_alu instid0(VALU_DEP_1)
	v_cmpx_gt_u64_e32 0x43e00001, v[30:31]
	s_xor_b32 s3, exec_lo, s0
	s_cbranch_execz .LBB7_172
; %bb.159:
	v_mov_b32_e32 v19, 0
	s_mov_b32 s4, exec_lo
	v_cmpx_ne_u32_e32 0, v9
	s_cbranch_execz .LBB7_171
; %bb.160:
	v_bfe_u32 v19, v9, 23, 8
	v_or_b32_e32 v31, 0x800000, v7
	s_delay_alu instid0(VALU_DEP_2) | instskip(SKIP_1) | instid1(VALU_DEP_2)
	v_sub_nc_u32_e32 v9, 0x79, v19
	v_cmp_gt_u32_e32 vcc_lo, 0x7a, v19
	v_cndmask_b32_e32 v9, 0, v9, vcc_lo
	v_cmp_eq_u32_e32 vcc_lo, 0, v19
	s_delay_alu instid0(VALU_DEP_2) | instskip(SKIP_1) | instid1(VALU_DEP_2)
	v_cndmask_b32_e64 v30, v9, 0x78, vcc_lo
	v_cndmask_b32_e32 v7, v31, v7, vcc_lo
	v_add_nc_u32_e32 v9, 20, v30
	v_add_nc_u32_e32 v31, 19, v30
	s_delay_alu instid0(VALU_DEP_2) | instskip(NEXT) | instid1(VALU_DEP_1)
	v_lshlrev_b64 v[9:10], v9, -1
	v_not_b32_e32 v33, v9
	s_delay_alu instid0(VALU_DEP_2) | instskip(NEXT) | instid1(VALU_DEP_4)
	v_not_b32_e32 v32, v10
	v_lshlrev_b64 v[9:10], v31, 1
	s_delay_alu instid0(VALU_DEP_3) | instskip(SKIP_1) | instid1(VALU_DEP_4)
	v_and_b32_e32 v31, v7, v33
	v_lshrrev_b64 v[7:8], v30, v[7:8]
	v_and_b32_e32 v32, 0, v32
	s_delay_alu instid0(VALU_DEP_1) | instskip(NEXT) | instid1(VALU_DEP_3)
	v_cmp_eq_u64_e64 s0, v[31:32], v[9:10]
	v_dual_mov_b32 v10, v8 :: v_dual_mov_b32 v9, v7
	s_delay_alu instid0(VALU_DEP_2)
	s_and_saveexec_b32 s5, s0
; %bb.161:
	v_bfe_u32 v9, v7, 20, 1
	s_delay_alu instid0(VALU_DEP_1) | instskip(NEXT) | instid1(VALU_DEP_1)
	v_add_co_u32 v9, s0, v7, v9
	v_add_co_u32 v9, s0, v9, -1
; %bb.162:
	s_or_b32 exec_lo, exec_lo, s5
	v_add_nc_u32_e32 v10, 0xffffff81, v19
	v_lshrrev_b32_e32 v19, 23, v7
	s_delay_alu instid0(VALU_DEP_3) | instskip(SKIP_1) | instid1(VALU_DEP_3)
	v_and_b32_e32 v9, 0xfffff, v9
	s_mov_b32 s0, exec_lo
	v_cndmask_b32_e64 v10, v10, 0xffffff82, vcc_lo
	s_delay_alu instid0(VALU_DEP_2) | instskip(SKIP_1) | instid1(VALU_DEP_3)
	v_add_co_u32 v7, vcc_lo, v9, v7
	v_add_co_ci_u32_e32 v8, vcc_lo, 0, v8, vcc_lo
	v_add3_u32 v10, v30, v10, v19
                                        ; implicit-def: $vgpr9
	s_delay_alu instid0(VALU_DEP_1) | instskip(NEXT) | instid1(VALU_DEP_1)
	v_add_nc_u32_e32 v19, 6, v10
	v_cmpx_ne_u32_e32 0, v19
	s_xor_b32 s0, exec_lo, s0
; %bb.163:
	v_cmp_lt_u64_e32 vcc_lo, 0xffffff, v[7:8]
	v_add_nc_u32_e32 v9, 7, v10
	v_cndmask_b32_e64 v10, 0, 1, vcc_lo
	s_delay_alu instid0(VALU_DEP_2) | instskip(NEXT) | instid1(VALU_DEP_2)
	v_cndmask_b32_e32 v9, v19, v9, vcc_lo
	v_lshrrev_b64 v[7:8], v10, v[7:8]
; %bb.164:
	s_and_not1_saveexec_b32 s0, s0
; %bb.165:
	s_delay_alu instid0(VALU_DEP_1)
	v_bfe_u32 v9, v7, 23, 1
; %bb.166:
	s_or_b32 exec_lo, exec_lo, s0
	s_delay_alu instid0(VALU_DEP_2) | instskip(NEXT) | instid1(VALU_DEP_2)
	v_lshrrev_b64 v[7:8], 20, v[7:8]
	v_cmp_gt_i32_e32 vcc_lo, 16, v9
	v_cmp_ne_u32_e64 s0, 0, v9
                                        ; implicit-def: $vgpr19
	s_delay_alu instid0(VALU_DEP_3) | instskip(NEXT) | instid1(VALU_DEP_1)
	v_dual_cndmask_b32 v8, 0, v8 :: v_dual_cndmask_b32 v7, 7, v7
	v_cmp_ne_u64_e32 vcc_lo, 0, v[7:8]
	s_delay_alu instid0(VALU_DEP_3) | instskip(NEXT) | instid1(SALU_CYCLE_1)
	s_or_b32 s0, s0, vcc_lo
	s_and_saveexec_b32 s5, s0
	s_delay_alu instid0(SALU_CYCLE_1)
	s_xor_b32 s0, exec_lo, s5
; %bb.167:
	v_min_i32_e32 v8, 15, v9
	s_delay_alu instid0(VALU_DEP_1) | instskip(NEXT) | instid1(VALU_DEP_1)
	v_lshl_or_b32 v8, v8, 3, v20
                                        ; implicit-def: $vgpr20
	v_and_or_b32 v19, v7, 7, v8
; %bb.168:
	s_and_not1_saveexec_b32 s0, s0
; %bb.169:
	v_mov_b32_e32 v19, v20
; %bb.170:
	s_or_b32 exec_lo, exec_lo, s0
.LBB7_171:
	s_delay_alu instid0(SALU_CYCLE_1)
	s_or_b32 exec_lo, exec_lo, s4
.LBB7_172:
	s_and_not1_saveexec_b32 s0, s3
	s_delay_alu instid0(SALU_CYCLE_1)
	s_or_b32 exec_lo, exec_lo, s0
                                        ; implicit-def: $vgpr10
                                        ; implicit-def: $vgpr7_vgpr8
.LBB7_173:
	s_and_not1_saveexec_b32 s0, s2
; %bb.174:
	v_cmp_eq_u64_e32 vcc_lo, 0, v[7:8]
	v_or_b32_e32 v9, 0x7f, v10
	s_delay_alu instid0(VALU_DEP_1)
	v_cndmask_b32_e32 v19, v9, v19, vcc_lo
; %bb.175:
	s_or_b32 exec_lo, exec_lo, s0
	v_dual_mul_f32 v7, v14, v29 :: v_dual_mov_b32 v8, 0
	s_mov_b32 s0, 0xc3e00000
	s_delay_alu instid0(VALU_DEP_1) | instid1(SALU_CYCLE_1)
	v_maxmin_f32 v9, v7, s0, 0x43e00000
	s_mov_b32 s0, exec_lo
	s_delay_alu instid0(VALU_DEP_2) | instskip(NEXT) | instid1(VALU_DEP_2)
	v_mov_b32_e32 v31, v8
	v_lshrrev_b32_e32 v10, 24, v9
	v_and_b32_e32 v30, 0x7f800000, v9
	v_and_b32_e32 v7, 0x7fffff, v9
	s_delay_alu instid0(VALU_DEP_3) | instskip(NEXT) | instid1(VALU_DEP_1)
	v_and_b32_e32 v29, 0x80, v10
	v_or_b32_e32 v20, 0x7e, v29
	s_delay_alu instid0(VALU_DEP_4)
	v_cmpx_ne_u64_e32 0x7f800000, v[30:31]
	s_xor_b32 s2, exec_lo, s0
	s_cbranch_execz .LBB7_191
; %bb.176:
	v_dual_mov_b32 v31, v8 :: v_dual_and_b32 v30, 0x7fffffff, v9
	s_mov_b32 s0, exec_lo
	s_delay_alu instid0(VALU_DEP_1)
	v_cmpx_gt_u64_e32 0x43e00001, v[30:31]
	s_xor_b32 s3, exec_lo, s0
	s_cbranch_execz .LBB7_190
; %bb.177:
	v_mov_b32_e32 v20, 0
	s_mov_b32 s4, exec_lo
	v_cmpx_ne_u32_e32 0, v9
	s_cbranch_execz .LBB7_189
; %bb.178:
	v_bfe_u32 v20, v9, 23, 8
	v_or_b32_e32 v31, 0x800000, v7
	s_delay_alu instid0(VALU_DEP_2) | instskip(SKIP_1) | instid1(VALU_DEP_2)
	v_sub_nc_u32_e32 v9, 0x79, v20
	v_cmp_gt_u32_e32 vcc_lo, 0x7a, v20
	v_cndmask_b32_e32 v9, 0, v9, vcc_lo
	v_cmp_eq_u32_e32 vcc_lo, 0, v20
	s_delay_alu instid0(VALU_DEP_2) | instskip(SKIP_1) | instid1(VALU_DEP_2)
	v_cndmask_b32_e64 v30, v9, 0x78, vcc_lo
	v_cndmask_b32_e32 v7, v31, v7, vcc_lo
	v_add_nc_u32_e32 v9, 20, v30
	v_add_nc_u32_e32 v31, 19, v30
	s_delay_alu instid0(VALU_DEP_2) | instskip(NEXT) | instid1(VALU_DEP_1)
	v_lshlrev_b64 v[9:10], v9, -1
	v_not_b32_e32 v33, v9
	s_delay_alu instid0(VALU_DEP_2) | instskip(NEXT) | instid1(VALU_DEP_4)
	v_not_b32_e32 v32, v10
	v_lshlrev_b64 v[9:10], v31, 1
	s_delay_alu instid0(VALU_DEP_3) | instskip(SKIP_1) | instid1(VALU_DEP_4)
	v_and_b32_e32 v31, v7, v33
	v_lshrrev_b64 v[7:8], v30, v[7:8]
	v_and_b32_e32 v32, 0, v32
	s_delay_alu instid0(VALU_DEP_1) | instskip(NEXT) | instid1(VALU_DEP_3)
	v_cmp_eq_u64_e64 s0, v[31:32], v[9:10]
	v_dual_mov_b32 v10, v8 :: v_dual_mov_b32 v9, v7
	s_delay_alu instid0(VALU_DEP_2)
	s_and_saveexec_b32 s5, s0
; %bb.179:
	v_bfe_u32 v9, v7, 20, 1
	s_delay_alu instid0(VALU_DEP_1) | instskip(NEXT) | instid1(VALU_DEP_1)
	v_add_co_u32 v9, s0, v7, v9
	v_add_co_u32 v9, s0, v9, -1
; %bb.180:
	s_or_b32 exec_lo, exec_lo, s5
	v_add_nc_u32_e32 v10, 0xffffff81, v20
	v_lshrrev_b32_e32 v20, 23, v7
	s_delay_alu instid0(VALU_DEP_3) | instskip(SKIP_1) | instid1(VALU_DEP_3)
	v_and_b32_e32 v9, 0xfffff, v9
	s_mov_b32 s0, exec_lo
	v_cndmask_b32_e64 v10, v10, 0xffffff82, vcc_lo
	s_delay_alu instid0(VALU_DEP_2) | instskip(SKIP_1) | instid1(VALU_DEP_3)
	v_add_co_u32 v7, vcc_lo, v9, v7
	v_add_co_ci_u32_e32 v8, vcc_lo, 0, v8, vcc_lo
	v_add3_u32 v10, v30, v10, v20
                                        ; implicit-def: $vgpr9
	s_delay_alu instid0(VALU_DEP_1) | instskip(NEXT) | instid1(VALU_DEP_1)
	v_add_nc_u32_e32 v20, 6, v10
	v_cmpx_ne_u32_e32 0, v20
	s_xor_b32 s0, exec_lo, s0
; %bb.181:
	v_cmp_lt_u64_e32 vcc_lo, 0xffffff, v[7:8]
	v_add_nc_u32_e32 v9, 7, v10
	v_cndmask_b32_e64 v10, 0, 1, vcc_lo
	s_delay_alu instid0(VALU_DEP_2) | instskip(NEXT) | instid1(VALU_DEP_2)
	v_cndmask_b32_e32 v9, v20, v9, vcc_lo
	v_lshrrev_b64 v[7:8], v10, v[7:8]
; %bb.182:
	s_and_not1_saveexec_b32 s0, s0
; %bb.183:
	s_delay_alu instid0(VALU_DEP_1)
	v_bfe_u32 v9, v7, 23, 1
; %bb.184:
	s_or_b32 exec_lo, exec_lo, s0
	s_delay_alu instid0(VALU_DEP_2) | instskip(NEXT) | instid1(VALU_DEP_2)
	v_lshrrev_b64 v[7:8], 20, v[7:8]
	v_cmp_gt_i32_e32 vcc_lo, 16, v9
	v_cmp_ne_u32_e64 s0, 0, v9
                                        ; implicit-def: $vgpr20
	s_delay_alu instid0(VALU_DEP_3) | instskip(NEXT) | instid1(VALU_DEP_1)
	v_dual_cndmask_b32 v8, 0, v8 :: v_dual_cndmask_b32 v7, 7, v7
	v_cmp_ne_u64_e32 vcc_lo, 0, v[7:8]
	s_delay_alu instid0(VALU_DEP_3) | instskip(NEXT) | instid1(SALU_CYCLE_1)
	s_or_b32 s0, s0, vcc_lo
	s_and_saveexec_b32 s5, s0
	s_delay_alu instid0(SALU_CYCLE_1)
	s_xor_b32 s0, exec_lo, s5
; %bb.185:
	v_min_i32_e32 v8, 15, v9
	s_delay_alu instid0(VALU_DEP_1) | instskip(NEXT) | instid1(VALU_DEP_1)
	v_lshl_or_b32 v8, v8, 3, v29
                                        ; implicit-def: $vgpr29
	v_and_or_b32 v20, v7, 7, v8
; %bb.186:
	s_and_not1_saveexec_b32 s0, s0
; %bb.187:
	v_mov_b32_e32 v20, v29
; %bb.188:
	s_or_b32 exec_lo, exec_lo, s0
.LBB7_189:
	s_delay_alu instid0(SALU_CYCLE_1)
	s_or_b32 exec_lo, exec_lo, s4
.LBB7_190:
	s_and_not1_saveexec_b32 s0, s3
	s_delay_alu instid0(SALU_CYCLE_1)
	s_or_b32 exec_lo, exec_lo, s0
                                        ; implicit-def: $vgpr10
                                        ; implicit-def: $vgpr7_vgpr8
.LBB7_191:
	s_and_not1_saveexec_b32 s0, s2
; %bb.192:
	v_cmp_eq_u64_e32 vcc_lo, 0, v[7:8]
	v_or_b32_e32 v9, 0x7f, v10
	s_delay_alu instid0(VALU_DEP_1)
	v_cndmask_b32_e32 v20, v9, v20, vcc_lo
; %bb.193:
	s_or_b32 exec_lo, exec_lo, s0
	v_dual_mul_f32 v7, v14, v26 :: v_dual_mov_b32 v8, 0
	s_mov_b32 s0, 0xc3e00000
	s_delay_alu instid0(VALU_DEP_1) | instid1(SALU_CYCLE_1)
	v_maxmin_f32 v9, v7, s0, 0x43e00000
	s_mov_b32 s0, exec_lo
	s_delay_alu instid0(VALU_DEP_2) | instskip(NEXT) | instid1(VALU_DEP_2)
	v_mov_b32_e32 v31, v8
	v_lshrrev_b32_e32 v10, 24, v9
	v_and_b32_e32 v30, 0x7f800000, v9
	v_and_b32_e32 v7, 0x7fffff, v9
	s_delay_alu instid0(VALU_DEP_3) | instskip(NEXT) | instid1(VALU_DEP_1)
	v_and_b32_e32 v29, 0x80, v10
	v_or_b32_e32 v26, 0x7e, v29
	s_delay_alu instid0(VALU_DEP_4)
	v_cmpx_ne_u64_e32 0x7f800000, v[30:31]
	s_xor_b32 s2, exec_lo, s0
	s_cbranch_execz .LBB7_209
; %bb.194:
	v_dual_mov_b32 v31, v8 :: v_dual_and_b32 v30, 0x7fffffff, v9
	s_mov_b32 s0, exec_lo
	s_delay_alu instid0(VALU_DEP_1)
	v_cmpx_gt_u64_e32 0x43e00001, v[30:31]
	s_xor_b32 s3, exec_lo, s0
	s_cbranch_execz .LBB7_208
; %bb.195:
	v_mov_b32_e32 v26, 0
	s_mov_b32 s4, exec_lo
	v_cmpx_ne_u32_e32 0, v9
	s_cbranch_execz .LBB7_207
; %bb.196:
	v_bfe_u32 v26, v9, 23, 8
	v_or_b32_e32 v31, 0x800000, v7
	s_delay_alu instid0(VALU_DEP_2) | instskip(SKIP_1) | instid1(VALU_DEP_2)
	v_sub_nc_u32_e32 v9, 0x79, v26
	v_cmp_gt_u32_e32 vcc_lo, 0x7a, v26
	v_cndmask_b32_e32 v9, 0, v9, vcc_lo
	v_cmp_eq_u32_e32 vcc_lo, 0, v26
	s_delay_alu instid0(VALU_DEP_2) | instskip(SKIP_1) | instid1(VALU_DEP_2)
	v_cndmask_b32_e64 v30, v9, 0x78, vcc_lo
	v_cndmask_b32_e32 v7, v31, v7, vcc_lo
	v_add_nc_u32_e32 v9, 20, v30
	v_add_nc_u32_e32 v31, 19, v30
	s_delay_alu instid0(VALU_DEP_2) | instskip(NEXT) | instid1(VALU_DEP_1)
	v_lshlrev_b64 v[9:10], v9, -1
	v_not_b32_e32 v33, v9
	s_delay_alu instid0(VALU_DEP_2) | instskip(NEXT) | instid1(VALU_DEP_4)
	v_not_b32_e32 v32, v10
	v_lshlrev_b64 v[9:10], v31, 1
	s_delay_alu instid0(VALU_DEP_3) | instskip(SKIP_1) | instid1(VALU_DEP_4)
	v_and_b32_e32 v31, v7, v33
	v_lshrrev_b64 v[7:8], v30, v[7:8]
	v_and_b32_e32 v32, 0, v32
	s_delay_alu instid0(VALU_DEP_1) | instskip(NEXT) | instid1(VALU_DEP_3)
	v_cmp_eq_u64_e64 s0, v[31:32], v[9:10]
	v_dual_mov_b32 v10, v8 :: v_dual_mov_b32 v9, v7
	s_delay_alu instid0(VALU_DEP_2)
	s_and_saveexec_b32 s5, s0
; %bb.197:
	v_bfe_u32 v9, v7, 20, 1
	s_delay_alu instid0(VALU_DEP_1) | instskip(NEXT) | instid1(VALU_DEP_1)
	v_add_co_u32 v9, s0, v7, v9
	v_add_co_u32 v9, s0, v9, -1
; %bb.198:
	s_or_b32 exec_lo, exec_lo, s5
	v_add_nc_u32_e32 v10, 0xffffff81, v26
	v_lshrrev_b32_e32 v26, 23, v7
	s_delay_alu instid0(VALU_DEP_3) | instskip(SKIP_1) | instid1(VALU_DEP_3)
	v_and_b32_e32 v9, 0xfffff, v9
	s_mov_b32 s0, exec_lo
	v_cndmask_b32_e64 v10, v10, 0xffffff82, vcc_lo
	s_delay_alu instid0(VALU_DEP_2) | instskip(SKIP_1) | instid1(VALU_DEP_3)
	v_add_co_u32 v7, vcc_lo, v9, v7
	v_add_co_ci_u32_e32 v8, vcc_lo, 0, v8, vcc_lo
	v_add3_u32 v10, v30, v10, v26
                                        ; implicit-def: $vgpr9
	s_delay_alu instid0(VALU_DEP_1) | instskip(NEXT) | instid1(VALU_DEP_1)
	v_add_nc_u32_e32 v26, 6, v10
	v_cmpx_ne_u32_e32 0, v26
	s_xor_b32 s0, exec_lo, s0
; %bb.199:
	v_cmp_lt_u64_e32 vcc_lo, 0xffffff, v[7:8]
	v_add_nc_u32_e32 v9, 7, v10
	v_cndmask_b32_e64 v10, 0, 1, vcc_lo
	s_delay_alu instid0(VALU_DEP_2) | instskip(NEXT) | instid1(VALU_DEP_2)
	v_cndmask_b32_e32 v9, v26, v9, vcc_lo
	v_lshrrev_b64 v[7:8], v10, v[7:8]
; %bb.200:
	s_and_not1_saveexec_b32 s0, s0
; %bb.201:
	s_delay_alu instid0(VALU_DEP_1)
	v_bfe_u32 v9, v7, 23, 1
; %bb.202:
	s_or_b32 exec_lo, exec_lo, s0
	s_delay_alu instid0(VALU_DEP_2) | instskip(NEXT) | instid1(VALU_DEP_2)
	v_lshrrev_b64 v[7:8], 20, v[7:8]
	v_cmp_gt_i32_e32 vcc_lo, 16, v9
	v_cmp_ne_u32_e64 s0, 0, v9
                                        ; implicit-def: $vgpr26
	s_delay_alu instid0(VALU_DEP_3) | instskip(NEXT) | instid1(VALU_DEP_1)
	v_dual_cndmask_b32 v8, 0, v8 :: v_dual_cndmask_b32 v7, 7, v7
	v_cmp_ne_u64_e32 vcc_lo, 0, v[7:8]
	s_delay_alu instid0(VALU_DEP_3) | instskip(NEXT) | instid1(SALU_CYCLE_1)
	s_or_b32 s0, s0, vcc_lo
	s_and_saveexec_b32 s5, s0
	s_delay_alu instid0(SALU_CYCLE_1)
	s_xor_b32 s0, exec_lo, s5
; %bb.203:
	v_min_i32_e32 v8, 15, v9
	s_delay_alu instid0(VALU_DEP_1) | instskip(NEXT) | instid1(VALU_DEP_1)
	v_lshl_or_b32 v8, v8, 3, v29
                                        ; implicit-def: $vgpr29
	v_and_or_b32 v26, v7, 7, v8
; %bb.204:
	s_and_not1_saveexec_b32 s0, s0
; %bb.205:
	v_mov_b32_e32 v26, v29
; %bb.206:
	s_or_b32 exec_lo, exec_lo, s0
.LBB7_207:
	s_delay_alu instid0(SALU_CYCLE_1)
	s_or_b32 exec_lo, exec_lo, s4
.LBB7_208:
	s_and_not1_saveexec_b32 s0, s3
	s_delay_alu instid0(SALU_CYCLE_1)
	s_or_b32 exec_lo, exec_lo, s0
                                        ; implicit-def: $vgpr10
                                        ; implicit-def: $vgpr7_vgpr8
.LBB7_209:
	s_and_not1_saveexec_b32 s0, s2
; %bb.210:
	v_cmp_eq_u64_e32 vcc_lo, 0, v[7:8]
	v_or_b32_e32 v9, 0x7f, v10
	s_delay_alu instid0(VALU_DEP_1)
	v_cndmask_b32_e32 v26, v9, v26, vcc_lo
; %bb.211:
	s_or_b32 exec_lo, exec_lo, s0
	v_dual_mul_f32 v7, v14, v28 :: v_dual_mov_b32 v8, 0
	s_mov_b32 s0, 0xc3e00000
	s_delay_alu instid0(VALU_DEP_1) | instid1(SALU_CYCLE_1)
	v_maxmin_f32 v9, v7, s0, 0x43e00000
	s_mov_b32 s0, exec_lo
	s_delay_alu instid0(VALU_DEP_2) | instskip(NEXT) | instid1(VALU_DEP_2)
	v_mov_b32_e32 v31, v8
	v_lshrrev_b32_e32 v10, 24, v9
	v_and_b32_e32 v30, 0x7f800000, v9
	v_and_b32_e32 v7, 0x7fffff, v9
	s_delay_alu instid0(VALU_DEP_3) | instskip(NEXT) | instid1(VALU_DEP_1)
	v_and_b32_e32 v29, 0x80, v10
	v_or_b32_e32 v28, 0x7e, v29
	s_delay_alu instid0(VALU_DEP_4)
	v_cmpx_ne_u64_e32 0x7f800000, v[30:31]
	s_xor_b32 s2, exec_lo, s0
	s_cbranch_execz .LBB7_227
; %bb.212:
	v_dual_mov_b32 v31, v8 :: v_dual_and_b32 v30, 0x7fffffff, v9
	s_mov_b32 s0, exec_lo
	s_delay_alu instid0(VALU_DEP_1)
	v_cmpx_gt_u64_e32 0x43e00001, v[30:31]
	s_xor_b32 s3, exec_lo, s0
	s_cbranch_execz .LBB7_226
; %bb.213:
	v_mov_b32_e32 v28, 0
	s_mov_b32 s4, exec_lo
	v_cmpx_ne_u32_e32 0, v9
	s_cbranch_execz .LBB7_225
; %bb.214:
	v_bfe_u32 v28, v9, 23, 8
	v_or_b32_e32 v31, 0x800000, v7
	s_delay_alu instid0(VALU_DEP_2) | instskip(SKIP_1) | instid1(VALU_DEP_2)
	v_sub_nc_u32_e32 v9, 0x79, v28
	v_cmp_gt_u32_e32 vcc_lo, 0x7a, v28
	v_cndmask_b32_e32 v9, 0, v9, vcc_lo
	v_cmp_eq_u32_e32 vcc_lo, 0, v28
	s_delay_alu instid0(VALU_DEP_2) | instskip(SKIP_1) | instid1(VALU_DEP_2)
	v_cndmask_b32_e64 v30, v9, 0x78, vcc_lo
	v_cndmask_b32_e32 v7, v31, v7, vcc_lo
	v_add_nc_u32_e32 v9, 20, v30
	v_add_nc_u32_e32 v31, 19, v30
	s_delay_alu instid0(VALU_DEP_2) | instskip(NEXT) | instid1(VALU_DEP_1)
	v_lshlrev_b64 v[9:10], v9, -1
	v_not_b32_e32 v33, v9
	s_delay_alu instid0(VALU_DEP_2) | instskip(NEXT) | instid1(VALU_DEP_4)
	v_not_b32_e32 v32, v10
	v_lshlrev_b64 v[9:10], v31, 1
	s_delay_alu instid0(VALU_DEP_3) | instskip(SKIP_1) | instid1(VALU_DEP_4)
	v_and_b32_e32 v31, v7, v33
	v_lshrrev_b64 v[7:8], v30, v[7:8]
	v_and_b32_e32 v32, 0, v32
	s_delay_alu instid0(VALU_DEP_1) | instskip(NEXT) | instid1(VALU_DEP_3)
	v_cmp_eq_u64_e64 s0, v[31:32], v[9:10]
	v_dual_mov_b32 v10, v8 :: v_dual_mov_b32 v9, v7
	s_delay_alu instid0(VALU_DEP_2)
	s_and_saveexec_b32 s5, s0
; %bb.215:
	v_bfe_u32 v9, v7, 20, 1
	s_delay_alu instid0(VALU_DEP_1) | instskip(NEXT) | instid1(VALU_DEP_1)
	v_add_co_u32 v9, s0, v7, v9
	v_add_co_u32 v9, s0, v9, -1
; %bb.216:
	s_or_b32 exec_lo, exec_lo, s5
	v_add_nc_u32_e32 v10, 0xffffff81, v28
	v_lshrrev_b32_e32 v28, 23, v7
	s_delay_alu instid0(VALU_DEP_3) | instskip(SKIP_1) | instid1(VALU_DEP_3)
	v_and_b32_e32 v9, 0xfffff, v9
	s_mov_b32 s0, exec_lo
	v_cndmask_b32_e64 v10, v10, 0xffffff82, vcc_lo
	s_delay_alu instid0(VALU_DEP_2) | instskip(SKIP_1) | instid1(VALU_DEP_3)
	v_add_co_u32 v7, vcc_lo, v9, v7
	v_add_co_ci_u32_e32 v8, vcc_lo, 0, v8, vcc_lo
	v_add3_u32 v10, v30, v10, v28
                                        ; implicit-def: $vgpr9
	s_delay_alu instid0(VALU_DEP_1) | instskip(NEXT) | instid1(VALU_DEP_1)
	v_add_nc_u32_e32 v28, 6, v10
	v_cmpx_ne_u32_e32 0, v28
	s_xor_b32 s0, exec_lo, s0
; %bb.217:
	v_cmp_lt_u64_e32 vcc_lo, 0xffffff, v[7:8]
	v_add_nc_u32_e32 v9, 7, v10
	v_cndmask_b32_e64 v10, 0, 1, vcc_lo
	s_delay_alu instid0(VALU_DEP_2) | instskip(NEXT) | instid1(VALU_DEP_2)
	v_cndmask_b32_e32 v9, v28, v9, vcc_lo
	v_lshrrev_b64 v[7:8], v10, v[7:8]
; %bb.218:
	s_and_not1_saveexec_b32 s0, s0
; %bb.219:
	s_delay_alu instid0(VALU_DEP_1)
	v_bfe_u32 v9, v7, 23, 1
; %bb.220:
	s_or_b32 exec_lo, exec_lo, s0
	s_delay_alu instid0(VALU_DEP_2) | instskip(NEXT) | instid1(VALU_DEP_2)
	v_lshrrev_b64 v[7:8], 20, v[7:8]
	v_cmp_gt_i32_e32 vcc_lo, 16, v9
	v_cmp_ne_u32_e64 s0, 0, v9
                                        ; implicit-def: $vgpr28
	s_delay_alu instid0(VALU_DEP_3) | instskip(NEXT) | instid1(VALU_DEP_1)
	v_dual_cndmask_b32 v8, 0, v8 :: v_dual_cndmask_b32 v7, 7, v7
	v_cmp_ne_u64_e32 vcc_lo, 0, v[7:8]
	s_delay_alu instid0(VALU_DEP_3) | instskip(NEXT) | instid1(SALU_CYCLE_1)
	s_or_b32 s0, s0, vcc_lo
	s_and_saveexec_b32 s5, s0
	s_delay_alu instid0(SALU_CYCLE_1)
	s_xor_b32 s0, exec_lo, s5
; %bb.221:
	v_min_i32_e32 v8, 15, v9
	s_delay_alu instid0(VALU_DEP_1) | instskip(NEXT) | instid1(VALU_DEP_1)
	v_lshl_or_b32 v8, v8, 3, v29
                                        ; implicit-def: $vgpr29
	v_and_or_b32 v28, v7, 7, v8
; %bb.222:
	s_and_not1_saveexec_b32 s0, s0
; %bb.223:
	v_mov_b32_e32 v28, v29
; %bb.224:
	s_or_b32 exec_lo, exec_lo, s0
.LBB7_225:
	s_delay_alu instid0(SALU_CYCLE_1)
	s_or_b32 exec_lo, exec_lo, s4
.LBB7_226:
	s_and_not1_saveexec_b32 s0, s3
	s_delay_alu instid0(SALU_CYCLE_1)
	s_or_b32 exec_lo, exec_lo, s0
                                        ; implicit-def: $vgpr10
                                        ; implicit-def: $vgpr7_vgpr8
.LBB7_227:
	s_and_not1_saveexec_b32 s0, s2
; %bb.228:
	v_cmp_eq_u64_e32 vcc_lo, 0, v[7:8]
	v_or_b32_e32 v9, 0x7f, v10
	s_delay_alu instid0(VALU_DEP_1)
	v_cndmask_b32_e32 v28, v9, v28, vcc_lo
; %bb.229:
	s_or_b32 exec_lo, exec_lo, s0
	v_dual_mul_f32 v7, v14, v27 :: v_dual_mov_b32 v8, 0
	s_mov_b32 s0, 0xc3e00000
	s_delay_alu instid0(VALU_DEP_1) | instid1(SALU_CYCLE_1)
	v_maxmin_f32 v9, v7, s0, 0x43e00000
	s_mov_b32 s0, exec_lo
	s_delay_alu instid0(VALU_DEP_2) | instskip(NEXT) | instid1(VALU_DEP_2)
	v_mov_b32_e32 v31, v8
	v_lshrrev_b32_e32 v10, 24, v9
	v_and_b32_e32 v30, 0x7f800000, v9
	v_and_b32_e32 v7, 0x7fffff, v9
	s_delay_alu instid0(VALU_DEP_3) | instskip(NEXT) | instid1(VALU_DEP_1)
	v_and_b32_e32 v29, 0x80, v10
	v_or_b32_e32 v27, 0x7e, v29
	s_delay_alu instid0(VALU_DEP_4)
	v_cmpx_ne_u64_e32 0x7f800000, v[30:31]
	s_xor_b32 s2, exec_lo, s0
	s_cbranch_execz .LBB7_245
; %bb.230:
	v_dual_mov_b32 v31, v8 :: v_dual_and_b32 v30, 0x7fffffff, v9
	s_mov_b32 s0, exec_lo
	s_delay_alu instid0(VALU_DEP_1)
	v_cmpx_gt_u64_e32 0x43e00001, v[30:31]
	s_xor_b32 s3, exec_lo, s0
	s_cbranch_execz .LBB7_244
; %bb.231:
	v_mov_b32_e32 v27, 0
	s_mov_b32 s4, exec_lo
	v_cmpx_ne_u32_e32 0, v9
	s_cbranch_execz .LBB7_243
; %bb.232:
	v_bfe_u32 v27, v9, 23, 8
	v_or_b32_e32 v31, 0x800000, v7
	s_delay_alu instid0(VALU_DEP_2) | instskip(SKIP_1) | instid1(VALU_DEP_2)
	v_sub_nc_u32_e32 v9, 0x79, v27
	v_cmp_gt_u32_e32 vcc_lo, 0x7a, v27
	v_cndmask_b32_e32 v9, 0, v9, vcc_lo
	v_cmp_eq_u32_e32 vcc_lo, 0, v27
	s_delay_alu instid0(VALU_DEP_2) | instskip(SKIP_1) | instid1(VALU_DEP_2)
	v_cndmask_b32_e64 v30, v9, 0x78, vcc_lo
	v_cndmask_b32_e32 v7, v31, v7, vcc_lo
	v_add_nc_u32_e32 v9, 20, v30
	v_add_nc_u32_e32 v31, 19, v30
	s_delay_alu instid0(VALU_DEP_2) | instskip(NEXT) | instid1(VALU_DEP_1)
	v_lshlrev_b64 v[9:10], v9, -1
	v_not_b32_e32 v33, v9
	s_delay_alu instid0(VALU_DEP_2) | instskip(NEXT) | instid1(VALU_DEP_4)
	v_not_b32_e32 v32, v10
	v_lshlrev_b64 v[9:10], v31, 1
	s_delay_alu instid0(VALU_DEP_3) | instskip(SKIP_1) | instid1(VALU_DEP_4)
	v_and_b32_e32 v31, v7, v33
	v_lshrrev_b64 v[7:8], v30, v[7:8]
	v_and_b32_e32 v32, 0, v32
	s_delay_alu instid0(VALU_DEP_1) | instskip(NEXT) | instid1(VALU_DEP_3)
	v_cmp_eq_u64_e64 s0, v[31:32], v[9:10]
	v_dual_mov_b32 v10, v8 :: v_dual_mov_b32 v9, v7
	s_delay_alu instid0(VALU_DEP_2)
	s_and_saveexec_b32 s5, s0
; %bb.233:
	v_bfe_u32 v9, v7, 20, 1
	s_delay_alu instid0(VALU_DEP_1) | instskip(NEXT) | instid1(VALU_DEP_1)
	v_add_co_u32 v9, s0, v7, v9
	v_add_co_u32 v9, s0, v9, -1
; %bb.234:
	s_or_b32 exec_lo, exec_lo, s5
	v_add_nc_u32_e32 v10, 0xffffff81, v27
	v_lshrrev_b32_e32 v27, 23, v7
	s_delay_alu instid0(VALU_DEP_3) | instskip(SKIP_1) | instid1(VALU_DEP_3)
	v_and_b32_e32 v9, 0xfffff, v9
	s_mov_b32 s0, exec_lo
	v_cndmask_b32_e64 v10, v10, 0xffffff82, vcc_lo
	s_delay_alu instid0(VALU_DEP_2) | instskip(SKIP_1) | instid1(VALU_DEP_3)
	v_add_co_u32 v7, vcc_lo, v9, v7
	v_add_co_ci_u32_e32 v8, vcc_lo, 0, v8, vcc_lo
	v_add3_u32 v10, v30, v10, v27
                                        ; implicit-def: $vgpr9
	s_delay_alu instid0(VALU_DEP_1) | instskip(NEXT) | instid1(VALU_DEP_1)
	v_add_nc_u32_e32 v27, 6, v10
	v_cmpx_ne_u32_e32 0, v27
	s_xor_b32 s0, exec_lo, s0
; %bb.235:
	v_cmp_lt_u64_e32 vcc_lo, 0xffffff, v[7:8]
	v_add_nc_u32_e32 v9, 7, v10
	v_cndmask_b32_e64 v10, 0, 1, vcc_lo
	s_delay_alu instid0(VALU_DEP_2) | instskip(NEXT) | instid1(VALU_DEP_2)
	v_cndmask_b32_e32 v9, v27, v9, vcc_lo
	v_lshrrev_b64 v[7:8], v10, v[7:8]
; %bb.236:
	s_and_not1_saveexec_b32 s0, s0
; %bb.237:
	s_delay_alu instid0(VALU_DEP_1)
	v_bfe_u32 v9, v7, 23, 1
; %bb.238:
	s_or_b32 exec_lo, exec_lo, s0
	s_delay_alu instid0(VALU_DEP_2) | instskip(NEXT) | instid1(VALU_DEP_2)
	v_lshrrev_b64 v[7:8], 20, v[7:8]
	v_cmp_gt_i32_e32 vcc_lo, 16, v9
	v_cmp_ne_u32_e64 s0, 0, v9
                                        ; implicit-def: $vgpr27
	s_delay_alu instid0(VALU_DEP_3) | instskip(NEXT) | instid1(VALU_DEP_1)
	v_dual_cndmask_b32 v8, 0, v8 :: v_dual_cndmask_b32 v7, 7, v7
	v_cmp_ne_u64_e32 vcc_lo, 0, v[7:8]
	s_delay_alu instid0(VALU_DEP_3) | instskip(NEXT) | instid1(SALU_CYCLE_1)
	s_or_b32 s0, s0, vcc_lo
	s_and_saveexec_b32 s5, s0
	s_delay_alu instid0(SALU_CYCLE_1)
	s_xor_b32 s0, exec_lo, s5
; %bb.239:
	v_min_i32_e32 v8, 15, v9
	s_delay_alu instid0(VALU_DEP_1) | instskip(NEXT) | instid1(VALU_DEP_1)
	v_lshl_or_b32 v8, v8, 3, v29
                                        ; implicit-def: $vgpr29
	v_and_or_b32 v27, v7, 7, v8
; %bb.240:
	s_and_not1_saveexec_b32 s0, s0
; %bb.241:
	v_mov_b32_e32 v27, v29
; %bb.242:
	s_or_b32 exec_lo, exec_lo, s0
.LBB7_243:
	s_delay_alu instid0(SALU_CYCLE_1)
	s_or_b32 exec_lo, exec_lo, s4
.LBB7_244:
	s_and_not1_saveexec_b32 s0, s3
	s_delay_alu instid0(SALU_CYCLE_1)
	s_or_b32 exec_lo, exec_lo, s0
                                        ; implicit-def: $vgpr10
                                        ; implicit-def: $vgpr7_vgpr8
.LBB7_245:
	s_and_not1_saveexec_b32 s0, s2
; %bb.246:
	v_cmp_eq_u64_e32 vcc_lo, 0, v[7:8]
	v_or_b32_e32 v9, 0x7f, v10
	s_delay_alu instid0(VALU_DEP_1)
	v_cndmask_b32_e32 v27, v9, v27, vcc_lo
; %bb.247:
	s_or_b32 exec_lo, exec_lo, s0
	v_dual_mul_f32 v7, v14, v25 :: v_dual_mov_b32 v8, 0
	s_mov_b32 s0, 0xc3e00000
	s_delay_alu instid0(VALU_DEP_1) | instid1(SALU_CYCLE_1)
	v_maxmin_f32 v9, v7, s0, 0x43e00000
	s_mov_b32 s0, exec_lo
	s_delay_alu instid0(VALU_DEP_2) | instskip(NEXT) | instid1(VALU_DEP_2)
	v_mov_b32_e32 v31, v8
	v_lshrrev_b32_e32 v10, 24, v9
	v_and_b32_e32 v30, 0x7f800000, v9
	v_and_b32_e32 v7, 0x7fffff, v9
	s_delay_alu instid0(VALU_DEP_3) | instskip(NEXT) | instid1(VALU_DEP_1)
	v_and_b32_e32 v29, 0x80, v10
	v_or_b32_e32 v25, 0x7e, v29
	s_delay_alu instid0(VALU_DEP_4)
	v_cmpx_ne_u64_e32 0x7f800000, v[30:31]
	s_xor_b32 s2, exec_lo, s0
	s_cbranch_execz .LBB7_263
; %bb.248:
	v_dual_mov_b32 v31, v8 :: v_dual_and_b32 v30, 0x7fffffff, v9
	s_mov_b32 s0, exec_lo
	s_delay_alu instid0(VALU_DEP_1)
	v_cmpx_gt_u64_e32 0x43e00001, v[30:31]
	s_xor_b32 s3, exec_lo, s0
	s_cbranch_execz .LBB7_262
; %bb.249:
	v_mov_b32_e32 v25, 0
	s_mov_b32 s4, exec_lo
	v_cmpx_ne_u32_e32 0, v9
	s_cbranch_execz .LBB7_261
; %bb.250:
	v_bfe_u32 v25, v9, 23, 8
	v_or_b32_e32 v31, 0x800000, v7
	s_delay_alu instid0(VALU_DEP_2) | instskip(SKIP_1) | instid1(VALU_DEP_2)
	v_sub_nc_u32_e32 v9, 0x79, v25
	v_cmp_gt_u32_e32 vcc_lo, 0x7a, v25
	v_cndmask_b32_e32 v9, 0, v9, vcc_lo
	v_cmp_eq_u32_e32 vcc_lo, 0, v25
	s_delay_alu instid0(VALU_DEP_2) | instskip(SKIP_1) | instid1(VALU_DEP_2)
	v_cndmask_b32_e64 v30, v9, 0x78, vcc_lo
	v_cndmask_b32_e32 v7, v31, v7, vcc_lo
	v_add_nc_u32_e32 v9, 20, v30
	v_add_nc_u32_e32 v31, 19, v30
	s_delay_alu instid0(VALU_DEP_2) | instskip(NEXT) | instid1(VALU_DEP_1)
	v_lshlrev_b64 v[9:10], v9, -1
	v_not_b32_e32 v33, v9
	s_delay_alu instid0(VALU_DEP_2) | instskip(NEXT) | instid1(VALU_DEP_4)
	v_not_b32_e32 v32, v10
	v_lshlrev_b64 v[9:10], v31, 1
	s_delay_alu instid0(VALU_DEP_3) | instskip(SKIP_1) | instid1(VALU_DEP_4)
	v_and_b32_e32 v31, v7, v33
	v_lshrrev_b64 v[7:8], v30, v[7:8]
	v_and_b32_e32 v32, 0, v32
	s_delay_alu instid0(VALU_DEP_1) | instskip(NEXT) | instid1(VALU_DEP_3)
	v_cmp_eq_u64_e64 s0, v[31:32], v[9:10]
	v_dual_mov_b32 v10, v8 :: v_dual_mov_b32 v9, v7
	s_delay_alu instid0(VALU_DEP_2)
	s_and_saveexec_b32 s5, s0
; %bb.251:
	v_bfe_u32 v9, v7, 20, 1
	s_delay_alu instid0(VALU_DEP_1) | instskip(NEXT) | instid1(VALU_DEP_1)
	v_add_co_u32 v9, s0, v7, v9
	v_add_co_u32 v9, s0, v9, -1
; %bb.252:
	s_or_b32 exec_lo, exec_lo, s5
	v_add_nc_u32_e32 v10, 0xffffff81, v25
	v_lshrrev_b32_e32 v25, 23, v7
	s_delay_alu instid0(VALU_DEP_3) | instskip(SKIP_1) | instid1(VALU_DEP_3)
	v_and_b32_e32 v9, 0xfffff, v9
	s_mov_b32 s0, exec_lo
	v_cndmask_b32_e64 v10, v10, 0xffffff82, vcc_lo
	s_delay_alu instid0(VALU_DEP_2) | instskip(SKIP_1) | instid1(VALU_DEP_3)
	v_add_co_u32 v7, vcc_lo, v9, v7
	v_add_co_ci_u32_e32 v8, vcc_lo, 0, v8, vcc_lo
	v_add3_u32 v10, v30, v10, v25
                                        ; implicit-def: $vgpr9
	s_delay_alu instid0(VALU_DEP_1) | instskip(NEXT) | instid1(VALU_DEP_1)
	v_add_nc_u32_e32 v25, 6, v10
	v_cmpx_ne_u32_e32 0, v25
	s_xor_b32 s0, exec_lo, s0
; %bb.253:
	v_cmp_lt_u64_e32 vcc_lo, 0xffffff, v[7:8]
	v_add_nc_u32_e32 v9, 7, v10
	v_cndmask_b32_e64 v10, 0, 1, vcc_lo
	s_delay_alu instid0(VALU_DEP_2) | instskip(NEXT) | instid1(VALU_DEP_2)
	v_cndmask_b32_e32 v9, v25, v9, vcc_lo
	v_lshrrev_b64 v[7:8], v10, v[7:8]
; %bb.254:
	s_and_not1_saveexec_b32 s0, s0
; %bb.255:
	s_delay_alu instid0(VALU_DEP_1)
	v_bfe_u32 v9, v7, 23, 1
; %bb.256:
	s_or_b32 exec_lo, exec_lo, s0
	s_delay_alu instid0(VALU_DEP_2) | instskip(NEXT) | instid1(VALU_DEP_2)
	v_lshrrev_b64 v[7:8], 20, v[7:8]
	v_cmp_gt_i32_e32 vcc_lo, 16, v9
	v_cmp_ne_u32_e64 s0, 0, v9
                                        ; implicit-def: $vgpr25
	s_delay_alu instid0(VALU_DEP_3) | instskip(NEXT) | instid1(VALU_DEP_1)
	v_dual_cndmask_b32 v8, 0, v8 :: v_dual_cndmask_b32 v7, 7, v7
	v_cmp_ne_u64_e32 vcc_lo, 0, v[7:8]
	s_delay_alu instid0(VALU_DEP_3) | instskip(NEXT) | instid1(SALU_CYCLE_1)
	s_or_b32 s0, s0, vcc_lo
	s_and_saveexec_b32 s5, s0
	s_delay_alu instid0(SALU_CYCLE_1)
	s_xor_b32 s0, exec_lo, s5
; %bb.257:
	v_min_i32_e32 v8, 15, v9
	s_delay_alu instid0(VALU_DEP_1) | instskip(NEXT) | instid1(VALU_DEP_1)
	v_lshl_or_b32 v8, v8, 3, v29
                                        ; implicit-def: $vgpr29
	v_and_or_b32 v25, v7, 7, v8
; %bb.258:
	s_and_not1_saveexec_b32 s0, s0
; %bb.259:
	v_mov_b32_e32 v25, v29
; %bb.260:
	s_or_b32 exec_lo, exec_lo, s0
.LBB7_261:
	s_delay_alu instid0(SALU_CYCLE_1)
	s_or_b32 exec_lo, exec_lo, s4
.LBB7_262:
	s_and_not1_saveexec_b32 s0, s3
	s_delay_alu instid0(SALU_CYCLE_1)
	s_or_b32 exec_lo, exec_lo, s0
                                        ; implicit-def: $vgpr10
                                        ; implicit-def: $vgpr7_vgpr8
.LBB7_263:
	s_and_not1_saveexec_b32 s0, s2
; %bb.264:
	v_cmp_eq_u64_e32 vcc_lo, 0, v[7:8]
	v_or_b32_e32 v9, 0x7f, v10
	s_delay_alu instid0(VALU_DEP_1)
	v_cndmask_b32_e32 v25, v9, v25, vcc_lo
; %bb.265:
	s_or_b32 exec_lo, exec_lo, s0
	v_dual_mul_f32 v7, v14, v24 :: v_dual_mov_b32 v8, 0
	s_mov_b32 s0, 0xc3e00000
	s_delay_alu instid0(VALU_DEP_1) | instid1(SALU_CYCLE_1)
	v_maxmin_f32 v9, v7, s0, 0x43e00000
	s_mov_b32 s0, exec_lo
	s_delay_alu instid0(VALU_DEP_2) | instskip(NEXT) | instid1(VALU_DEP_2)
	v_mov_b32_e32 v31, v8
	v_lshrrev_b32_e32 v10, 24, v9
	v_and_b32_e32 v30, 0x7f800000, v9
	v_and_b32_e32 v7, 0x7fffff, v9
	s_delay_alu instid0(VALU_DEP_3) | instskip(NEXT) | instid1(VALU_DEP_1)
	v_and_b32_e32 v29, 0x80, v10
	v_or_b32_e32 v24, 0x7e, v29
	s_delay_alu instid0(VALU_DEP_4)
	v_cmpx_ne_u64_e32 0x7f800000, v[30:31]
	s_xor_b32 s2, exec_lo, s0
	s_cbranch_execz .LBB7_281
; %bb.266:
	v_dual_mov_b32 v31, v8 :: v_dual_and_b32 v30, 0x7fffffff, v9
	s_mov_b32 s0, exec_lo
	s_delay_alu instid0(VALU_DEP_1)
	v_cmpx_gt_u64_e32 0x43e00001, v[30:31]
	s_xor_b32 s3, exec_lo, s0
	s_cbranch_execz .LBB7_280
; %bb.267:
	v_mov_b32_e32 v24, 0
	s_mov_b32 s4, exec_lo
	v_cmpx_ne_u32_e32 0, v9
	s_cbranch_execz .LBB7_279
; %bb.268:
	v_bfe_u32 v24, v9, 23, 8
	v_or_b32_e32 v31, 0x800000, v7
	s_delay_alu instid0(VALU_DEP_2) | instskip(SKIP_1) | instid1(VALU_DEP_2)
	v_sub_nc_u32_e32 v9, 0x79, v24
	v_cmp_gt_u32_e32 vcc_lo, 0x7a, v24
	v_cndmask_b32_e32 v9, 0, v9, vcc_lo
	v_cmp_eq_u32_e32 vcc_lo, 0, v24
	s_delay_alu instid0(VALU_DEP_2) | instskip(SKIP_1) | instid1(VALU_DEP_2)
	v_cndmask_b32_e64 v30, v9, 0x78, vcc_lo
	v_cndmask_b32_e32 v7, v31, v7, vcc_lo
	v_add_nc_u32_e32 v9, 20, v30
	v_add_nc_u32_e32 v31, 19, v30
	s_delay_alu instid0(VALU_DEP_2) | instskip(NEXT) | instid1(VALU_DEP_1)
	v_lshlrev_b64 v[9:10], v9, -1
	v_not_b32_e32 v33, v9
	s_delay_alu instid0(VALU_DEP_2) | instskip(NEXT) | instid1(VALU_DEP_4)
	v_not_b32_e32 v32, v10
	v_lshlrev_b64 v[9:10], v31, 1
	s_delay_alu instid0(VALU_DEP_3) | instskip(SKIP_1) | instid1(VALU_DEP_4)
	v_and_b32_e32 v31, v7, v33
	v_lshrrev_b64 v[7:8], v30, v[7:8]
	v_and_b32_e32 v32, 0, v32
	s_delay_alu instid0(VALU_DEP_1) | instskip(NEXT) | instid1(VALU_DEP_3)
	v_cmp_eq_u64_e64 s0, v[31:32], v[9:10]
	v_dual_mov_b32 v10, v8 :: v_dual_mov_b32 v9, v7
	s_delay_alu instid0(VALU_DEP_2)
	s_and_saveexec_b32 s5, s0
; %bb.269:
	v_bfe_u32 v9, v7, 20, 1
	s_delay_alu instid0(VALU_DEP_1) | instskip(NEXT) | instid1(VALU_DEP_1)
	v_add_co_u32 v9, s0, v7, v9
	v_add_co_u32 v9, s0, v9, -1
; %bb.270:
	s_or_b32 exec_lo, exec_lo, s5
	v_add_nc_u32_e32 v10, 0xffffff81, v24
	v_lshrrev_b32_e32 v24, 23, v7
	s_delay_alu instid0(VALU_DEP_3) | instskip(SKIP_1) | instid1(VALU_DEP_3)
	v_and_b32_e32 v9, 0xfffff, v9
	s_mov_b32 s0, exec_lo
	v_cndmask_b32_e64 v10, v10, 0xffffff82, vcc_lo
	s_delay_alu instid0(VALU_DEP_2) | instskip(SKIP_1) | instid1(VALU_DEP_3)
	v_add_co_u32 v7, vcc_lo, v9, v7
	v_add_co_ci_u32_e32 v8, vcc_lo, 0, v8, vcc_lo
	v_add3_u32 v10, v30, v10, v24
                                        ; implicit-def: $vgpr9
	s_delay_alu instid0(VALU_DEP_1) | instskip(NEXT) | instid1(VALU_DEP_1)
	v_add_nc_u32_e32 v24, 6, v10
	v_cmpx_ne_u32_e32 0, v24
	s_xor_b32 s0, exec_lo, s0
; %bb.271:
	v_cmp_lt_u64_e32 vcc_lo, 0xffffff, v[7:8]
	v_add_nc_u32_e32 v9, 7, v10
	v_cndmask_b32_e64 v10, 0, 1, vcc_lo
	s_delay_alu instid0(VALU_DEP_2) | instskip(NEXT) | instid1(VALU_DEP_2)
	v_cndmask_b32_e32 v9, v24, v9, vcc_lo
	v_lshrrev_b64 v[7:8], v10, v[7:8]
; %bb.272:
	s_and_not1_saveexec_b32 s0, s0
; %bb.273:
	s_delay_alu instid0(VALU_DEP_1)
	v_bfe_u32 v9, v7, 23, 1
; %bb.274:
	s_or_b32 exec_lo, exec_lo, s0
	s_delay_alu instid0(VALU_DEP_2) | instskip(NEXT) | instid1(VALU_DEP_2)
	v_lshrrev_b64 v[7:8], 20, v[7:8]
	v_cmp_gt_i32_e32 vcc_lo, 16, v9
	v_cmp_ne_u32_e64 s0, 0, v9
                                        ; implicit-def: $vgpr24
	s_delay_alu instid0(VALU_DEP_3) | instskip(NEXT) | instid1(VALU_DEP_1)
	v_dual_cndmask_b32 v8, 0, v8 :: v_dual_cndmask_b32 v7, 7, v7
	v_cmp_ne_u64_e32 vcc_lo, 0, v[7:8]
	s_delay_alu instid0(VALU_DEP_3) | instskip(NEXT) | instid1(SALU_CYCLE_1)
	s_or_b32 s0, s0, vcc_lo
	s_and_saveexec_b32 s5, s0
	s_delay_alu instid0(SALU_CYCLE_1)
	s_xor_b32 s0, exec_lo, s5
; %bb.275:
	v_min_i32_e32 v8, 15, v9
	s_delay_alu instid0(VALU_DEP_1) | instskip(NEXT) | instid1(VALU_DEP_1)
	v_lshl_or_b32 v8, v8, 3, v29
                                        ; implicit-def: $vgpr29
	v_and_or_b32 v24, v7, 7, v8
; %bb.276:
	s_and_not1_saveexec_b32 s0, s0
; %bb.277:
	v_mov_b32_e32 v24, v29
; %bb.278:
	s_or_b32 exec_lo, exec_lo, s0
.LBB7_279:
	s_delay_alu instid0(SALU_CYCLE_1)
	s_or_b32 exec_lo, exec_lo, s4
.LBB7_280:
	s_and_not1_saveexec_b32 s0, s3
	s_delay_alu instid0(SALU_CYCLE_1)
	s_or_b32 exec_lo, exec_lo, s0
                                        ; implicit-def: $vgpr10
                                        ; implicit-def: $vgpr7_vgpr8
.LBB7_281:
	s_and_not1_saveexec_b32 s0, s2
; %bb.282:
	v_cmp_eq_u64_e32 vcc_lo, 0, v[7:8]
	v_or_b32_e32 v9, 0x7f, v10
	s_delay_alu instid0(VALU_DEP_1)
	v_cndmask_b32_e32 v24, v9, v24, vcc_lo
; %bb.283:
	s_or_b32 exec_lo, exec_lo, s0
	v_dual_mul_f32 v7, v14, v23 :: v_dual_mov_b32 v8, 0
	s_mov_b32 s0, 0xc3e00000
	s_delay_alu instid0(VALU_DEP_1) | instid1(SALU_CYCLE_1)
	v_maxmin_f32 v9, v7, s0, 0x43e00000
	s_mov_b32 s0, exec_lo
	s_delay_alu instid0(VALU_DEP_2) | instskip(NEXT) | instid1(VALU_DEP_2)
	v_mov_b32_e32 v31, v8
	v_lshrrev_b32_e32 v10, 24, v9
	v_and_b32_e32 v30, 0x7f800000, v9
	v_and_b32_e32 v7, 0x7fffff, v9
	s_delay_alu instid0(VALU_DEP_3) | instskip(NEXT) | instid1(VALU_DEP_1)
	v_and_b32_e32 v29, 0x80, v10
	v_or_b32_e32 v23, 0x7e, v29
	s_delay_alu instid0(VALU_DEP_4)
	v_cmpx_ne_u64_e32 0x7f800000, v[30:31]
	s_xor_b32 s2, exec_lo, s0
	s_cbranch_execz .LBB7_299
; %bb.284:
	v_dual_mov_b32 v31, v8 :: v_dual_and_b32 v30, 0x7fffffff, v9
	s_mov_b32 s0, exec_lo
	s_delay_alu instid0(VALU_DEP_1)
	v_cmpx_gt_u64_e32 0x43e00001, v[30:31]
	s_xor_b32 s3, exec_lo, s0
	s_cbranch_execz .LBB7_298
; %bb.285:
	v_mov_b32_e32 v23, 0
	s_mov_b32 s4, exec_lo
	v_cmpx_ne_u32_e32 0, v9
	s_cbranch_execz .LBB7_297
; %bb.286:
	v_bfe_u32 v23, v9, 23, 8
	v_or_b32_e32 v31, 0x800000, v7
	s_delay_alu instid0(VALU_DEP_2) | instskip(SKIP_1) | instid1(VALU_DEP_2)
	v_sub_nc_u32_e32 v9, 0x79, v23
	v_cmp_gt_u32_e32 vcc_lo, 0x7a, v23
	v_cndmask_b32_e32 v9, 0, v9, vcc_lo
	v_cmp_eq_u32_e32 vcc_lo, 0, v23
	s_delay_alu instid0(VALU_DEP_2) | instskip(SKIP_1) | instid1(VALU_DEP_2)
	v_cndmask_b32_e64 v30, v9, 0x78, vcc_lo
	v_cndmask_b32_e32 v7, v31, v7, vcc_lo
	v_add_nc_u32_e32 v9, 20, v30
	v_add_nc_u32_e32 v31, 19, v30
	s_delay_alu instid0(VALU_DEP_2) | instskip(NEXT) | instid1(VALU_DEP_1)
	v_lshlrev_b64 v[9:10], v9, -1
	v_not_b32_e32 v33, v9
	s_delay_alu instid0(VALU_DEP_2) | instskip(NEXT) | instid1(VALU_DEP_4)
	v_not_b32_e32 v32, v10
	v_lshlrev_b64 v[9:10], v31, 1
	s_delay_alu instid0(VALU_DEP_3) | instskip(SKIP_1) | instid1(VALU_DEP_4)
	v_and_b32_e32 v31, v7, v33
	v_lshrrev_b64 v[7:8], v30, v[7:8]
	v_and_b32_e32 v32, 0, v32
	s_delay_alu instid0(VALU_DEP_1) | instskip(NEXT) | instid1(VALU_DEP_3)
	v_cmp_eq_u64_e64 s0, v[31:32], v[9:10]
	v_dual_mov_b32 v10, v8 :: v_dual_mov_b32 v9, v7
	s_delay_alu instid0(VALU_DEP_2)
	s_and_saveexec_b32 s5, s0
; %bb.287:
	v_bfe_u32 v9, v7, 20, 1
	s_delay_alu instid0(VALU_DEP_1) | instskip(NEXT) | instid1(VALU_DEP_1)
	v_add_co_u32 v9, s0, v7, v9
	v_add_co_u32 v9, s0, v9, -1
; %bb.288:
	s_or_b32 exec_lo, exec_lo, s5
	v_add_nc_u32_e32 v10, 0xffffff81, v23
	v_lshrrev_b32_e32 v23, 23, v7
	s_delay_alu instid0(VALU_DEP_3) | instskip(SKIP_1) | instid1(VALU_DEP_3)
	v_and_b32_e32 v9, 0xfffff, v9
	s_mov_b32 s0, exec_lo
	v_cndmask_b32_e64 v10, v10, 0xffffff82, vcc_lo
	s_delay_alu instid0(VALU_DEP_2) | instskip(SKIP_1) | instid1(VALU_DEP_3)
	v_add_co_u32 v7, vcc_lo, v9, v7
	v_add_co_ci_u32_e32 v8, vcc_lo, 0, v8, vcc_lo
	v_add3_u32 v10, v30, v10, v23
                                        ; implicit-def: $vgpr9
	s_delay_alu instid0(VALU_DEP_1) | instskip(NEXT) | instid1(VALU_DEP_1)
	v_add_nc_u32_e32 v23, 6, v10
	v_cmpx_ne_u32_e32 0, v23
	s_xor_b32 s0, exec_lo, s0
; %bb.289:
	v_cmp_lt_u64_e32 vcc_lo, 0xffffff, v[7:8]
	v_add_nc_u32_e32 v9, 7, v10
	v_cndmask_b32_e64 v10, 0, 1, vcc_lo
	s_delay_alu instid0(VALU_DEP_2) | instskip(NEXT) | instid1(VALU_DEP_2)
	v_cndmask_b32_e32 v9, v23, v9, vcc_lo
	v_lshrrev_b64 v[7:8], v10, v[7:8]
; %bb.290:
	s_and_not1_saveexec_b32 s0, s0
; %bb.291:
	s_delay_alu instid0(VALU_DEP_1)
	v_bfe_u32 v9, v7, 23, 1
; %bb.292:
	s_or_b32 exec_lo, exec_lo, s0
	s_delay_alu instid0(VALU_DEP_2) | instskip(NEXT) | instid1(VALU_DEP_2)
	v_lshrrev_b64 v[7:8], 20, v[7:8]
	v_cmp_gt_i32_e32 vcc_lo, 16, v9
	v_cmp_ne_u32_e64 s0, 0, v9
                                        ; implicit-def: $vgpr23
	s_delay_alu instid0(VALU_DEP_3) | instskip(NEXT) | instid1(VALU_DEP_1)
	v_dual_cndmask_b32 v8, 0, v8 :: v_dual_cndmask_b32 v7, 7, v7
	v_cmp_ne_u64_e32 vcc_lo, 0, v[7:8]
	s_delay_alu instid0(VALU_DEP_3) | instskip(NEXT) | instid1(SALU_CYCLE_1)
	s_or_b32 s0, s0, vcc_lo
	s_and_saveexec_b32 s5, s0
	s_delay_alu instid0(SALU_CYCLE_1)
	s_xor_b32 s0, exec_lo, s5
; %bb.293:
	v_min_i32_e32 v8, 15, v9
	s_delay_alu instid0(VALU_DEP_1) | instskip(NEXT) | instid1(VALU_DEP_1)
	v_lshl_or_b32 v8, v8, 3, v29
                                        ; implicit-def: $vgpr29
	v_and_or_b32 v23, v7, 7, v8
; %bb.294:
	s_and_not1_saveexec_b32 s0, s0
; %bb.295:
	v_mov_b32_e32 v23, v29
; %bb.296:
	s_or_b32 exec_lo, exec_lo, s0
.LBB7_297:
	s_delay_alu instid0(SALU_CYCLE_1)
	s_or_b32 exec_lo, exec_lo, s4
.LBB7_298:
	s_and_not1_saveexec_b32 s0, s3
	s_delay_alu instid0(SALU_CYCLE_1)
	s_or_b32 exec_lo, exec_lo, s0
                                        ; implicit-def: $vgpr10
                                        ; implicit-def: $vgpr7_vgpr8
.LBB7_299:
	s_and_not1_saveexec_b32 s0, s2
; %bb.300:
	v_cmp_eq_u64_e32 vcc_lo, 0, v[7:8]
	v_or_b32_e32 v9, 0x7f, v10
	s_delay_alu instid0(VALU_DEP_1)
	v_cndmask_b32_e32 v23, v9, v23, vcc_lo
; %bb.301:
	s_or_b32 exec_lo, exec_lo, s0
	v_dual_mul_f32 v7, v14, v22 :: v_dual_mov_b32 v8, 0
	s_mov_b32 s0, 0xc3e00000
	s_delay_alu instid0(VALU_DEP_1) | instid1(SALU_CYCLE_1)
	v_maxmin_f32 v9, v7, s0, 0x43e00000
	s_mov_b32 s0, exec_lo
	s_delay_alu instid0(VALU_DEP_2) | instskip(NEXT) | instid1(VALU_DEP_2)
	v_mov_b32_e32 v31, v8
	v_lshrrev_b32_e32 v10, 24, v9
	v_and_b32_e32 v30, 0x7f800000, v9
	v_and_b32_e32 v7, 0x7fffff, v9
	s_delay_alu instid0(VALU_DEP_3) | instskip(NEXT) | instid1(VALU_DEP_1)
	v_and_b32_e32 v29, 0x80, v10
	v_or_b32_e32 v22, 0x7e, v29
	s_delay_alu instid0(VALU_DEP_4)
	v_cmpx_ne_u64_e32 0x7f800000, v[30:31]
	s_xor_b32 s2, exec_lo, s0
	s_cbranch_execz .LBB7_317
; %bb.302:
	v_dual_mov_b32 v31, v8 :: v_dual_and_b32 v30, 0x7fffffff, v9
	s_mov_b32 s0, exec_lo
	s_delay_alu instid0(VALU_DEP_1)
	v_cmpx_gt_u64_e32 0x43e00001, v[30:31]
	s_xor_b32 s3, exec_lo, s0
	s_cbranch_execz .LBB7_316
; %bb.303:
	v_mov_b32_e32 v22, 0
	s_mov_b32 s4, exec_lo
	v_cmpx_ne_u32_e32 0, v9
	s_cbranch_execz .LBB7_315
; %bb.304:
	v_bfe_u32 v22, v9, 23, 8
	v_or_b32_e32 v31, 0x800000, v7
	s_delay_alu instid0(VALU_DEP_2) | instskip(SKIP_1) | instid1(VALU_DEP_2)
	v_sub_nc_u32_e32 v9, 0x79, v22
	v_cmp_gt_u32_e32 vcc_lo, 0x7a, v22
	v_cndmask_b32_e32 v9, 0, v9, vcc_lo
	v_cmp_eq_u32_e32 vcc_lo, 0, v22
	s_delay_alu instid0(VALU_DEP_2) | instskip(SKIP_1) | instid1(VALU_DEP_2)
	v_cndmask_b32_e64 v30, v9, 0x78, vcc_lo
	v_cndmask_b32_e32 v7, v31, v7, vcc_lo
	v_add_nc_u32_e32 v9, 20, v30
	v_add_nc_u32_e32 v31, 19, v30
	s_delay_alu instid0(VALU_DEP_2) | instskip(NEXT) | instid1(VALU_DEP_1)
	v_lshlrev_b64 v[9:10], v9, -1
	v_not_b32_e32 v33, v9
	s_delay_alu instid0(VALU_DEP_2) | instskip(NEXT) | instid1(VALU_DEP_4)
	v_not_b32_e32 v32, v10
	v_lshlrev_b64 v[9:10], v31, 1
	s_delay_alu instid0(VALU_DEP_3) | instskip(SKIP_1) | instid1(VALU_DEP_4)
	v_and_b32_e32 v31, v7, v33
	v_lshrrev_b64 v[7:8], v30, v[7:8]
	v_and_b32_e32 v32, 0, v32
	s_delay_alu instid0(VALU_DEP_1) | instskip(NEXT) | instid1(VALU_DEP_3)
	v_cmp_eq_u64_e64 s0, v[31:32], v[9:10]
	v_dual_mov_b32 v10, v8 :: v_dual_mov_b32 v9, v7
	s_delay_alu instid0(VALU_DEP_2)
	s_and_saveexec_b32 s5, s0
; %bb.305:
	v_bfe_u32 v9, v7, 20, 1
	s_delay_alu instid0(VALU_DEP_1) | instskip(NEXT) | instid1(VALU_DEP_1)
	v_add_co_u32 v9, s0, v7, v9
	v_add_co_u32 v9, s0, v9, -1
; %bb.306:
	s_or_b32 exec_lo, exec_lo, s5
	v_add_nc_u32_e32 v10, 0xffffff81, v22
	v_lshrrev_b32_e32 v22, 23, v7
	s_delay_alu instid0(VALU_DEP_3) | instskip(SKIP_1) | instid1(VALU_DEP_3)
	v_and_b32_e32 v9, 0xfffff, v9
	s_mov_b32 s0, exec_lo
	v_cndmask_b32_e64 v10, v10, 0xffffff82, vcc_lo
	s_delay_alu instid0(VALU_DEP_2) | instskip(SKIP_1) | instid1(VALU_DEP_3)
	v_add_co_u32 v7, vcc_lo, v9, v7
	v_add_co_ci_u32_e32 v8, vcc_lo, 0, v8, vcc_lo
	v_add3_u32 v10, v30, v10, v22
                                        ; implicit-def: $vgpr9
	s_delay_alu instid0(VALU_DEP_1) | instskip(NEXT) | instid1(VALU_DEP_1)
	v_add_nc_u32_e32 v22, 6, v10
	v_cmpx_ne_u32_e32 0, v22
	s_xor_b32 s0, exec_lo, s0
; %bb.307:
	v_cmp_lt_u64_e32 vcc_lo, 0xffffff, v[7:8]
	v_add_nc_u32_e32 v9, 7, v10
	v_cndmask_b32_e64 v10, 0, 1, vcc_lo
	s_delay_alu instid0(VALU_DEP_2) | instskip(NEXT) | instid1(VALU_DEP_2)
	v_cndmask_b32_e32 v9, v22, v9, vcc_lo
	v_lshrrev_b64 v[7:8], v10, v[7:8]
; %bb.308:
	s_and_not1_saveexec_b32 s0, s0
; %bb.309:
	s_delay_alu instid0(VALU_DEP_1)
	v_bfe_u32 v9, v7, 23, 1
; %bb.310:
	s_or_b32 exec_lo, exec_lo, s0
	s_delay_alu instid0(VALU_DEP_2) | instskip(NEXT) | instid1(VALU_DEP_2)
	v_lshrrev_b64 v[7:8], 20, v[7:8]
	v_cmp_gt_i32_e32 vcc_lo, 16, v9
	v_cmp_ne_u32_e64 s0, 0, v9
                                        ; implicit-def: $vgpr22
	s_delay_alu instid0(VALU_DEP_3) | instskip(NEXT) | instid1(VALU_DEP_1)
	v_dual_cndmask_b32 v8, 0, v8 :: v_dual_cndmask_b32 v7, 7, v7
	v_cmp_ne_u64_e32 vcc_lo, 0, v[7:8]
	s_delay_alu instid0(VALU_DEP_3) | instskip(NEXT) | instid1(SALU_CYCLE_1)
	s_or_b32 s0, s0, vcc_lo
	s_and_saveexec_b32 s5, s0
	s_delay_alu instid0(SALU_CYCLE_1)
	s_xor_b32 s0, exec_lo, s5
; %bb.311:
	v_min_i32_e32 v8, 15, v9
	s_delay_alu instid0(VALU_DEP_1) | instskip(NEXT) | instid1(VALU_DEP_1)
	v_lshl_or_b32 v8, v8, 3, v29
                                        ; implicit-def: $vgpr29
	v_and_or_b32 v22, v7, 7, v8
; %bb.312:
	s_and_not1_saveexec_b32 s0, s0
; %bb.313:
	v_mov_b32_e32 v22, v29
; %bb.314:
	s_or_b32 exec_lo, exec_lo, s0
.LBB7_315:
	s_delay_alu instid0(SALU_CYCLE_1)
	s_or_b32 exec_lo, exec_lo, s4
.LBB7_316:
	s_and_not1_saveexec_b32 s0, s3
	s_delay_alu instid0(SALU_CYCLE_1)
	s_or_b32 exec_lo, exec_lo, s0
                                        ; implicit-def: $vgpr10
                                        ; implicit-def: $vgpr7_vgpr8
.LBB7_317:
	s_and_not1_saveexec_b32 s0, s2
; %bb.318:
	v_cmp_eq_u64_e32 vcc_lo, 0, v[7:8]
	v_or_b32_e32 v9, 0x7f, v10
	s_delay_alu instid0(VALU_DEP_1)
	v_cndmask_b32_e32 v22, v9, v22, vcc_lo
; %bb.319:
	s_or_b32 exec_lo, exec_lo, s0
	v_dual_mul_f32 v7, v14, v21 :: v_dual_mov_b32 v8, 0
	s_mov_b32 s0, 0xc3e00000
	s_delay_alu instid0(VALU_DEP_1) | instid1(SALU_CYCLE_1)
	v_maxmin_f32 v9, v7, s0, 0x43e00000
	s_mov_b32 s0, exec_lo
	s_delay_alu instid0(VALU_DEP_2) | instskip(NEXT) | instid1(VALU_DEP_2)
	v_mov_b32_e32 v31, v8
	v_lshrrev_b32_e32 v10, 24, v9
	v_and_b32_e32 v30, 0x7f800000, v9
	v_and_b32_e32 v7, 0x7fffff, v9
	s_delay_alu instid0(VALU_DEP_3) | instskip(NEXT) | instid1(VALU_DEP_1)
	v_and_b32_e32 v29, 0x80, v10
	v_or_b32_e32 v21, 0x7e, v29
	s_delay_alu instid0(VALU_DEP_4)
	v_cmpx_ne_u64_e32 0x7f800000, v[30:31]
	s_xor_b32 s2, exec_lo, s0
	s_cbranch_execz .LBB7_335
; %bb.320:
	v_dual_mov_b32 v31, v8 :: v_dual_and_b32 v30, 0x7fffffff, v9
	s_mov_b32 s0, exec_lo
	s_delay_alu instid0(VALU_DEP_1)
	v_cmpx_gt_u64_e32 0x43e00001, v[30:31]
	s_xor_b32 s3, exec_lo, s0
	s_cbranch_execz .LBB7_334
; %bb.321:
	v_mov_b32_e32 v21, 0
	s_mov_b32 s4, exec_lo
	v_cmpx_ne_u32_e32 0, v9
	s_cbranch_execz .LBB7_333
; %bb.322:
	v_bfe_u32 v21, v9, 23, 8
	v_or_b32_e32 v31, 0x800000, v7
	s_delay_alu instid0(VALU_DEP_2) | instskip(SKIP_1) | instid1(VALU_DEP_2)
	v_sub_nc_u32_e32 v9, 0x79, v21
	v_cmp_gt_u32_e32 vcc_lo, 0x7a, v21
	v_cndmask_b32_e32 v9, 0, v9, vcc_lo
	v_cmp_eq_u32_e32 vcc_lo, 0, v21
	s_delay_alu instid0(VALU_DEP_2) | instskip(SKIP_1) | instid1(VALU_DEP_2)
	v_cndmask_b32_e64 v30, v9, 0x78, vcc_lo
	v_cndmask_b32_e32 v7, v31, v7, vcc_lo
	v_add_nc_u32_e32 v9, 20, v30
	v_add_nc_u32_e32 v31, 19, v30
	s_delay_alu instid0(VALU_DEP_2) | instskip(NEXT) | instid1(VALU_DEP_1)
	v_lshlrev_b64 v[9:10], v9, -1
	v_not_b32_e32 v33, v9
	s_delay_alu instid0(VALU_DEP_2) | instskip(NEXT) | instid1(VALU_DEP_4)
	v_not_b32_e32 v32, v10
	v_lshlrev_b64 v[9:10], v31, 1
	s_delay_alu instid0(VALU_DEP_3) | instskip(SKIP_1) | instid1(VALU_DEP_4)
	v_and_b32_e32 v31, v7, v33
	v_lshrrev_b64 v[7:8], v30, v[7:8]
	v_and_b32_e32 v32, 0, v32
	s_delay_alu instid0(VALU_DEP_1) | instskip(NEXT) | instid1(VALU_DEP_3)
	v_cmp_eq_u64_e64 s0, v[31:32], v[9:10]
	v_dual_mov_b32 v10, v8 :: v_dual_mov_b32 v9, v7
	s_delay_alu instid0(VALU_DEP_2)
	s_and_saveexec_b32 s5, s0
; %bb.323:
	v_bfe_u32 v9, v7, 20, 1
	s_delay_alu instid0(VALU_DEP_1) | instskip(NEXT) | instid1(VALU_DEP_1)
	v_add_co_u32 v9, s0, v7, v9
	v_add_co_u32 v9, s0, v9, -1
; %bb.324:
	s_or_b32 exec_lo, exec_lo, s5
	v_add_nc_u32_e32 v10, 0xffffff81, v21
	v_lshrrev_b32_e32 v21, 23, v7
	s_delay_alu instid0(VALU_DEP_3) | instskip(SKIP_1) | instid1(VALU_DEP_3)
	v_and_b32_e32 v9, 0xfffff, v9
	s_mov_b32 s0, exec_lo
	v_cndmask_b32_e64 v10, v10, 0xffffff82, vcc_lo
	s_delay_alu instid0(VALU_DEP_2) | instskip(SKIP_1) | instid1(VALU_DEP_3)
	v_add_co_u32 v7, vcc_lo, v9, v7
	v_add_co_ci_u32_e32 v8, vcc_lo, 0, v8, vcc_lo
	v_add3_u32 v10, v30, v10, v21
                                        ; implicit-def: $vgpr9
	s_delay_alu instid0(VALU_DEP_1) | instskip(NEXT) | instid1(VALU_DEP_1)
	v_add_nc_u32_e32 v21, 6, v10
	v_cmpx_ne_u32_e32 0, v21
	s_xor_b32 s0, exec_lo, s0
; %bb.325:
	v_cmp_lt_u64_e32 vcc_lo, 0xffffff, v[7:8]
	v_add_nc_u32_e32 v9, 7, v10
	v_cndmask_b32_e64 v10, 0, 1, vcc_lo
	s_delay_alu instid0(VALU_DEP_2) | instskip(NEXT) | instid1(VALU_DEP_2)
	v_cndmask_b32_e32 v9, v21, v9, vcc_lo
	v_lshrrev_b64 v[7:8], v10, v[7:8]
; %bb.326:
	s_and_not1_saveexec_b32 s0, s0
; %bb.327:
	s_delay_alu instid0(VALU_DEP_1)
	v_bfe_u32 v9, v7, 23, 1
; %bb.328:
	s_or_b32 exec_lo, exec_lo, s0
	s_delay_alu instid0(VALU_DEP_2) | instskip(NEXT) | instid1(VALU_DEP_2)
	v_lshrrev_b64 v[7:8], 20, v[7:8]
	v_cmp_gt_i32_e32 vcc_lo, 16, v9
	v_cmp_ne_u32_e64 s0, 0, v9
                                        ; implicit-def: $vgpr21
	s_delay_alu instid0(VALU_DEP_3) | instskip(NEXT) | instid1(VALU_DEP_1)
	v_dual_cndmask_b32 v8, 0, v8 :: v_dual_cndmask_b32 v7, 7, v7
	v_cmp_ne_u64_e32 vcc_lo, 0, v[7:8]
	s_delay_alu instid0(VALU_DEP_3) | instskip(NEXT) | instid1(SALU_CYCLE_1)
	s_or_b32 s0, s0, vcc_lo
	s_and_saveexec_b32 s5, s0
	s_delay_alu instid0(SALU_CYCLE_1)
	s_xor_b32 s0, exec_lo, s5
; %bb.329:
	v_min_i32_e32 v8, 15, v9
	s_delay_alu instid0(VALU_DEP_1) | instskip(NEXT) | instid1(VALU_DEP_1)
	v_lshl_or_b32 v8, v8, 3, v29
                                        ; implicit-def: $vgpr29
	v_and_or_b32 v21, v7, 7, v8
; %bb.330:
	s_and_not1_saveexec_b32 s0, s0
; %bb.331:
	v_mov_b32_e32 v21, v29
; %bb.332:
	s_or_b32 exec_lo, exec_lo, s0
.LBB7_333:
	s_delay_alu instid0(SALU_CYCLE_1)
	s_or_b32 exec_lo, exec_lo, s4
.LBB7_334:
	s_and_not1_saveexec_b32 s0, s3
	s_delay_alu instid0(SALU_CYCLE_1)
	s_or_b32 exec_lo, exec_lo, s0
                                        ; implicit-def: $vgpr10
                                        ; implicit-def: $vgpr7_vgpr8
.LBB7_335:
	s_and_not1_saveexec_b32 s0, s2
; %bb.336:
	v_cmp_eq_u64_e32 vcc_lo, 0, v[7:8]
	v_or_b32_e32 v9, 0x7f, v10
	s_delay_alu instid0(VALU_DEP_1)
	v_cndmask_b32_e32 v21, v9, v21, vcc_lo
; %bb.337:
	s_or_b32 exec_lo, exec_lo, s0
	v_dual_mul_f32 v7, v14, v16 :: v_dual_mov_b32 v8, 0
	s_mov_b32 s0, 0xc3e00000
	s_delay_alu instid0(VALU_DEP_1) | instid1(SALU_CYCLE_1)
	v_maxmin_f32 v9, v7, s0, 0x43e00000
	s_mov_b32 s0, exec_lo
	s_delay_alu instid0(VALU_DEP_2) | instskip(NEXT) | instid1(VALU_DEP_2)
	v_mov_b32_e32 v31, v8
	v_lshrrev_b32_e32 v10, 24, v9
	v_and_b32_e32 v30, 0x7f800000, v9
	v_and_b32_e32 v7, 0x7fffff, v9
	s_delay_alu instid0(VALU_DEP_3) | instskip(NEXT) | instid1(VALU_DEP_1)
	v_and_b32_e32 v29, 0x80, v10
	v_or_b32_e32 v16, 0x7e, v29
	s_delay_alu instid0(VALU_DEP_4)
	v_cmpx_ne_u64_e32 0x7f800000, v[30:31]
	s_xor_b32 s2, exec_lo, s0
	s_cbranch_execz .LBB7_353
; %bb.338:
	v_dual_mov_b32 v31, v8 :: v_dual_and_b32 v30, 0x7fffffff, v9
	s_mov_b32 s0, exec_lo
	s_delay_alu instid0(VALU_DEP_1)
	v_cmpx_gt_u64_e32 0x43e00001, v[30:31]
	s_xor_b32 s3, exec_lo, s0
	s_cbranch_execz .LBB7_352
; %bb.339:
	v_mov_b32_e32 v16, 0
	s_mov_b32 s4, exec_lo
	v_cmpx_ne_u32_e32 0, v9
	s_cbranch_execz .LBB7_351
; %bb.340:
	v_bfe_u32 v16, v9, 23, 8
	v_or_b32_e32 v31, 0x800000, v7
	s_delay_alu instid0(VALU_DEP_2) | instskip(SKIP_1) | instid1(VALU_DEP_2)
	v_sub_nc_u32_e32 v9, 0x79, v16
	v_cmp_gt_u32_e32 vcc_lo, 0x7a, v16
	v_cndmask_b32_e32 v9, 0, v9, vcc_lo
	v_cmp_eq_u32_e32 vcc_lo, 0, v16
	s_delay_alu instid0(VALU_DEP_2) | instskip(SKIP_1) | instid1(VALU_DEP_2)
	v_cndmask_b32_e64 v30, v9, 0x78, vcc_lo
	v_cndmask_b32_e32 v7, v31, v7, vcc_lo
	v_add_nc_u32_e32 v9, 20, v30
	v_add_nc_u32_e32 v31, 19, v30
	s_delay_alu instid0(VALU_DEP_2) | instskip(NEXT) | instid1(VALU_DEP_1)
	v_lshlrev_b64 v[9:10], v9, -1
	v_not_b32_e32 v33, v9
	s_delay_alu instid0(VALU_DEP_2) | instskip(NEXT) | instid1(VALU_DEP_4)
	v_not_b32_e32 v32, v10
	v_lshlrev_b64 v[9:10], v31, 1
	s_delay_alu instid0(VALU_DEP_3) | instskip(SKIP_1) | instid1(VALU_DEP_4)
	v_and_b32_e32 v31, v7, v33
	v_lshrrev_b64 v[7:8], v30, v[7:8]
	v_and_b32_e32 v32, 0, v32
	s_delay_alu instid0(VALU_DEP_1) | instskip(NEXT) | instid1(VALU_DEP_3)
	v_cmp_eq_u64_e64 s0, v[31:32], v[9:10]
	v_dual_mov_b32 v10, v8 :: v_dual_mov_b32 v9, v7
	s_delay_alu instid0(VALU_DEP_2)
	s_and_saveexec_b32 s5, s0
; %bb.341:
	v_bfe_u32 v9, v7, 20, 1
	s_delay_alu instid0(VALU_DEP_1) | instskip(NEXT) | instid1(VALU_DEP_1)
	v_add_co_u32 v9, s0, v7, v9
	v_add_co_u32 v9, s0, v9, -1
; %bb.342:
	s_or_b32 exec_lo, exec_lo, s5
	v_add_nc_u32_e32 v10, 0xffffff81, v16
	v_lshrrev_b32_e32 v16, 23, v7
	s_delay_alu instid0(VALU_DEP_3) | instskip(SKIP_1) | instid1(VALU_DEP_3)
	v_and_b32_e32 v9, 0xfffff, v9
	s_mov_b32 s0, exec_lo
	v_cndmask_b32_e64 v10, v10, 0xffffff82, vcc_lo
	s_delay_alu instid0(VALU_DEP_2) | instskip(SKIP_1) | instid1(VALU_DEP_3)
	v_add_co_u32 v7, vcc_lo, v9, v7
	v_add_co_ci_u32_e32 v8, vcc_lo, 0, v8, vcc_lo
	v_add3_u32 v10, v30, v10, v16
                                        ; implicit-def: $vgpr9
	s_delay_alu instid0(VALU_DEP_1) | instskip(NEXT) | instid1(VALU_DEP_1)
	v_add_nc_u32_e32 v16, 6, v10
	v_cmpx_ne_u32_e32 0, v16
	s_xor_b32 s0, exec_lo, s0
; %bb.343:
	v_cmp_lt_u64_e32 vcc_lo, 0xffffff, v[7:8]
	v_add_nc_u32_e32 v9, 7, v10
	v_cndmask_b32_e64 v10, 0, 1, vcc_lo
	s_delay_alu instid0(VALU_DEP_2) | instskip(NEXT) | instid1(VALU_DEP_2)
	v_cndmask_b32_e32 v9, v16, v9, vcc_lo
	v_lshrrev_b64 v[7:8], v10, v[7:8]
; %bb.344:
	s_and_not1_saveexec_b32 s0, s0
; %bb.345:
	s_delay_alu instid0(VALU_DEP_1)
	v_bfe_u32 v9, v7, 23, 1
; %bb.346:
	s_or_b32 exec_lo, exec_lo, s0
	s_delay_alu instid0(VALU_DEP_2) | instskip(NEXT) | instid1(VALU_DEP_2)
	v_lshrrev_b64 v[7:8], 20, v[7:8]
	v_cmp_gt_i32_e32 vcc_lo, 16, v9
	v_cmp_ne_u32_e64 s0, 0, v9
                                        ; implicit-def: $vgpr16
	s_delay_alu instid0(VALU_DEP_3) | instskip(NEXT) | instid1(VALU_DEP_1)
	v_dual_cndmask_b32 v8, 0, v8 :: v_dual_cndmask_b32 v7, 7, v7
	v_cmp_ne_u64_e32 vcc_lo, 0, v[7:8]
	s_delay_alu instid0(VALU_DEP_3) | instskip(NEXT) | instid1(SALU_CYCLE_1)
	s_or_b32 s0, s0, vcc_lo
	s_and_saveexec_b32 s5, s0
	s_delay_alu instid0(SALU_CYCLE_1)
	s_xor_b32 s0, exec_lo, s5
; %bb.347:
	v_min_i32_e32 v8, 15, v9
	s_delay_alu instid0(VALU_DEP_1) | instskip(NEXT) | instid1(VALU_DEP_1)
	v_lshl_or_b32 v8, v8, 3, v29
                                        ; implicit-def: $vgpr29
	v_and_or_b32 v16, v7, 7, v8
; %bb.348:
	s_and_not1_saveexec_b32 s0, s0
; %bb.349:
	v_mov_b32_e32 v16, v29
; %bb.350:
	s_or_b32 exec_lo, exec_lo, s0
.LBB7_351:
	s_delay_alu instid0(SALU_CYCLE_1)
	s_or_b32 exec_lo, exec_lo, s4
.LBB7_352:
	s_and_not1_saveexec_b32 s0, s3
	s_delay_alu instid0(SALU_CYCLE_1)
	s_or_b32 exec_lo, exec_lo, s0
                                        ; implicit-def: $vgpr10
                                        ; implicit-def: $vgpr7_vgpr8
.LBB7_353:
	s_and_not1_saveexec_b32 s0, s2
; %bb.354:
	v_cmp_eq_u64_e32 vcc_lo, 0, v[7:8]
	v_or_b32_e32 v9, 0x7f, v10
	s_delay_alu instid0(VALU_DEP_1)
	v_cndmask_b32_e32 v16, v9, v16, vcc_lo
; %bb.355:
	s_or_b32 exec_lo, exec_lo, s0
	v_dual_mul_f32 v7, v14, v13 :: v_dual_mov_b32 v8, 0
	s_mov_b32 s0, 0xc3e00000
	s_delay_alu instid0(VALU_DEP_1) | instid1(SALU_CYCLE_1)
	v_maxmin_f32 v10, v7, s0, 0x43e00000
	s_mov_b32 s0, exec_lo
	s_delay_alu instid0(VALU_DEP_2) | instskip(NEXT) | instid1(VALU_DEP_2)
	v_mov_b32_e32 v30, v8
	v_lshrrev_b32_e32 v14, 24, v10
	v_and_b32_e32 v29, 0x7f800000, v10
	v_and_b32_e32 v7, 0x7fffff, v10
	s_delay_alu instid0(VALU_DEP_3) | instskip(NEXT) | instid1(VALU_DEP_1)
	v_and_b32_e32 v13, 0x80, v14
	v_or_b32_e32 v9, 0x7e, v13
	s_delay_alu instid0(VALU_DEP_4)
	v_cmpx_ne_u64_e32 0x7f800000, v[29:30]
	s_xor_b32 s2, exec_lo, s0
	s_cbranch_execz .LBB7_371
; %bb.356:
	v_dual_mov_b32 v30, v8 :: v_dual_and_b32 v29, 0x7fffffff, v10
	s_mov_b32 s0, exec_lo
	s_delay_alu instid0(VALU_DEP_1)
	v_cmpx_gt_u64_e32 0x43e00001, v[29:30]
	s_xor_b32 s3, exec_lo, s0
	s_cbranch_execz .LBB7_370
; %bb.357:
	v_mov_b32_e32 v9, 0
	s_mov_b32 s4, exec_lo
	v_cmpx_ne_u32_e32 0, v10
	s_cbranch_execz .LBB7_369
; %bb.358:
	v_bfe_u32 v14, v10, 23, 8
	v_or_b32_e32 v30, 0x800000, v7
	s_delay_alu instid0(VALU_DEP_2) | instskip(SKIP_1) | instid1(VALU_DEP_2)
	v_sub_nc_u32_e32 v9, 0x79, v14
	v_cmp_gt_u32_e32 vcc_lo, 0x7a, v14
	v_cndmask_b32_e32 v9, 0, v9, vcc_lo
	v_cmp_eq_u32_e32 vcc_lo, 0, v14
	s_delay_alu instid0(VALU_DEP_2) | instskip(NEXT) | instid1(VALU_DEP_1)
	v_cndmask_b32_e64 v29, v9, 0x78, vcc_lo
	v_dual_cndmask_b32 v7, v30, v7 :: v_dual_add_nc_u32 v30, 19, v29
	v_add_nc_u32_e32 v9, 20, v29
	s_delay_alu instid0(VALU_DEP_1) | instskip(NEXT) | instid1(VALU_DEP_1)
	v_lshlrev_b64 v[9:10], v9, -1
	v_not_b32_e32 v32, v9
	s_delay_alu instid0(VALU_DEP_2) | instskip(SKIP_1) | instid1(VALU_DEP_3)
	v_not_b32_e32 v31, v10
	v_lshlrev_b64 v[9:10], v30, 1
	v_and_b32_e32 v30, v7, v32
	v_lshrrev_b64 v[7:8], v29, v[7:8]
	s_delay_alu instid0(VALU_DEP_4) | instskip(NEXT) | instid1(VALU_DEP_1)
	v_and_b32_e32 v31, 0, v31
	v_cmp_eq_u64_e64 s0, v[30:31], v[9:10]
	s_delay_alu instid0(VALU_DEP_3) | instskip(NEXT) | instid1(VALU_DEP_2)
	v_dual_mov_b32 v10, v8 :: v_dual_mov_b32 v9, v7
	s_and_saveexec_b32 s5, s0
; %bb.359:
	v_bfe_u32 v9, v7, 20, 1
	s_delay_alu instid0(VALU_DEP_1) | instskip(NEXT) | instid1(VALU_DEP_1)
	v_add_co_u32 v9, s0, v7, v9
	v_add_co_u32 v9, s0, v9, -1
; %bb.360:
	s_or_b32 exec_lo, exec_lo, s5
	v_add_nc_u32_e32 v10, 0xffffff81, v14
	v_lshrrev_b32_e32 v14, 23, v7
	s_mov_b32 s0, exec_lo
	s_delay_alu instid0(VALU_DEP_2) | instskip(NEXT) | instid1(VALU_DEP_1)
	v_cndmask_b32_e64 v10, v10, 0xffffff82, vcc_lo
	v_add3_u32 v14, v29, v10, v14
	v_and_b32_e32 v10, 0xfffff, v9
	s_delay_alu instid0(VALU_DEP_2) | instskip(NEXT) | instid1(VALU_DEP_2)
	v_add_nc_u32_e32 v9, 6, v14
	v_add_co_u32 v7, vcc_lo, v10, v7
	v_add_co_ci_u32_e32 v8, vcc_lo, 0, v8, vcc_lo
                                        ; implicit-def: $vgpr10
	s_delay_alu instid0(VALU_DEP_3)
	v_cmpx_ne_u32_e32 0, v9
	s_xor_b32 s0, exec_lo, s0
; %bb.361:
	s_delay_alu instid0(VALU_DEP_2) | instskip(SKIP_1) | instid1(VALU_DEP_1)
	v_cmp_lt_u64_e32 vcc_lo, 0xffffff, v[7:8]
	v_add_nc_u32_e32 v10, 7, v14
	v_cndmask_b32_e32 v10, v9, v10, vcc_lo
	v_cndmask_b32_e64 v9, 0, 1, vcc_lo
	s_delay_alu instid0(VALU_DEP_1)
	v_lshrrev_b64 v[7:8], v9, v[7:8]
; %bb.362:
	s_and_not1_saveexec_b32 s0, s0
; %bb.363:
	s_delay_alu instid0(VALU_DEP_1)
	v_bfe_u32 v10, v7, 23, 1
; %bb.364:
	s_or_b32 exec_lo, exec_lo, s0
	s_delay_alu instid0(VALU_DEP_2) | instskip(NEXT) | instid1(VALU_DEP_2)
	v_lshrrev_b64 v[7:8], 20, v[7:8]
	v_cmp_gt_i32_e32 vcc_lo, 16, v10
	v_cmp_ne_u32_e64 s0, 0, v10
                                        ; implicit-def: $vgpr9
	s_delay_alu instid0(VALU_DEP_3) | instskip(NEXT) | instid1(VALU_DEP_1)
	v_dual_cndmask_b32 v8, 0, v8 :: v_dual_cndmask_b32 v7, 7, v7
	v_cmp_ne_u64_e32 vcc_lo, 0, v[7:8]
	s_delay_alu instid0(VALU_DEP_3) | instskip(NEXT) | instid1(SALU_CYCLE_1)
	s_or_b32 s0, s0, vcc_lo
	s_and_saveexec_b32 s5, s0
	s_delay_alu instid0(SALU_CYCLE_1)
	s_xor_b32 s0, exec_lo, s5
; %bb.365:
	v_min_i32_e32 v8, 15, v10
	s_delay_alu instid0(VALU_DEP_1) | instskip(NEXT) | instid1(VALU_DEP_1)
	v_lshl_or_b32 v8, v8, 3, v13
                                        ; implicit-def: $vgpr13
	v_and_or_b32 v9, v7, 7, v8
; %bb.366:
	s_and_not1_saveexec_b32 s0, s0
; %bb.367:
	v_mov_b32_e32 v9, v13
; %bb.368:
	s_or_b32 exec_lo, exec_lo, s0
.LBB7_369:
	s_delay_alu instid0(SALU_CYCLE_1)
	s_or_b32 exec_lo, exec_lo, s4
.LBB7_370:
	s_and_not1_saveexec_b32 s0, s3
	s_delay_alu instid0(SALU_CYCLE_1)
	s_or_b32 exec_lo, exec_lo, s0
                                        ; implicit-def: $vgpr14
                                        ; implicit-def: $vgpr7_vgpr8
.LBB7_371:
	s_and_not1_saveexec_b32 s0, s2
; %bb.372:
	v_cmp_eq_u64_e32 vcc_lo, 0, v[7:8]
	v_or_b32_e32 v10, 0x7f, v14
	s_delay_alu instid0(VALU_DEP_1)
	v_cndmask_b32_e32 v9, v10, v9, vcc_lo
; %bb.373:
	s_or_b32 exec_lo, exec_lo, s0
	v_mad_i64_i32 v[7:8], null, 0x240, s8, v[3:4]
	v_lshlrev_b64 v[5:6], 3, v[5:6]
	v_lshlrev_b16 v10, 8, v21
	v_and_b32_e32 v13, 0xff, v22
	v_lshlrev_b16 v9, 8, v9
	v_and_b32_e32 v14, 0xff, v16
	;; [unrolled: 2-line block ×3, first 2 shown]
	v_add_co_u32 v3, vcc_lo, v7, v5
	v_add_co_ci_u32_e32 v4, vcc_lo, v8, v6, vcc_lo
	v_or_b32_e32 v5, v13, v10
	v_or_b32_e32 v6, v14, v9
	;; [unrolled: 1-line block ×3, first 2 shown]
	v_lshlrev_b16 v8, 8, v23
	v_and_b32_e32 v9, 0xff, v24
	v_lshlrev_b16 v10, 8, v20
	v_and_b32_e32 v13, 0xff, v19
	v_lshlrev_b16 v14, 8, v28
	v_and_b32_e32 v16, 0xff, v26
	v_lshlrev_b16 v15, 8, v15
	v_and_b32_e32 v12, 0xff, v12
	v_lshlrev_b16 v18, 8, v18
	v_and_b32_e32 v17, 0xff, v17
	v_or_b32_e32 v8, v9, v8
	v_or_b32_e32 v9, v13, v10
	;; [unrolled: 1-line block ×5, first 2 shown]
	v_and_b32_e32 v5, 0xffff, v5
	v_lshlrev_b32_e32 v6, 16, v6
	v_and_b32_e32 v7, 0xffff, v7
	v_lshlrev_b32_e32 v14, 16, v8
	;; [unrolled: 2-line block ×4, first 2 shown]
	v_add_co_u32 v1, vcc_lo, v1, v37
	v_add_co_ci_u32_e32 v2, vcc_lo, 0, v2, vcc_lo
	v_and_b32_e32 v0, 3, v0
	v_or_b32_e32 v8, v5, v6
	v_or_b32_e32 v7, v7, v14
	;; [unrolled: 1-line block ×4, first 2 shown]
	s_mov_b32 s0, exec_lo
	global_store_b128 v[1:2], v[5:8], off
	v_cmpx_eq_u32_e32 0, v0
	s_cbranch_execz .LBB7_375
; %bb.374:
	v_add_f32_e32 v0, 0x42fe0000, v11
	v_lshrrev_b32_e32 v1, 2, v38
	s_delay_alu instid0(VALU_DEP_2) | instskip(NEXT) | instid1(VALU_DEP_1)
	v_minmax_f32 v0, v0, 0x437f0000, 0
	v_cvt_i32_f32_e32 v2, v0
	s_delay_alu instid0(VALU_DEP_3)
	v_add_co_u32 v0, vcc_lo, v3, v1
	v_add_co_ci_u32_e32 v1, vcc_lo, 0, v4, vcc_lo
	global_store_b8 v[0:1], v2, off
.LBB7_375:
	s_or_b32 exec_lo, exec_lo, s0
	s_delay_alu instid0(SALU_CYCLE_1)
	s_mov_b32 s0, exec_lo
	v_cmpx_eq_u32_e32 0, v38
	s_cbranch_execz .LBB7_377
; %bb.376:
	v_mov_b32_e32 v0, 0
	global_store_b8 v[3:4], v0, off offset:7
.LBB7_377:
	s_or_b32 exec_lo, exec_lo, s0
                                        ; implicit-def: $vgpr37
                                        ; implicit-def: $vgpr34
                                        ; implicit-def: $vgpr35
                                        ; implicit-def: $vgpr39
                                        ; implicit-def: $vgpr40
                                        ; implicit-def: $vgpr41
                                        ; implicit-def: $vgpr42
                                        ; implicit-def: $vgpr43
                                        ; implicit-def: $vgpr44
                                        ; implicit-def: $vgpr45
                                        ; implicit-def: $vgpr46
                                        ; implicit-def: $vgpr47
                                        ; implicit-def: $vgpr48
                                        ; implicit-def: $vgpr49
                                        ; implicit-def: $vgpr50
                                        ; implicit-def: $vgpr51
                                        ; implicit-def: $vgpr52
                                        ; implicit-def: $vgpr1_vgpr2
.LBB7_378:
	s_and_not1_saveexec_b32 s0, s1
	s_cbranch_execz .LBB7_380
; %bb.379:
	v_lshlrev_b32_e32 v0, 1, v37
	v_perm_b32 v3, v44, v43, 0x7060302
	v_perm_b32 v7, v52, v51, 0x7060302
	;; [unrolled: 1-line block ×4, first 2 shown]
	s_waitcnt lgkmcnt(0)
	v_add_co_u32 v8, vcc_lo, v1, v0
	v_add_co_ci_u32_e32 v9, vcc_lo, 0, v2, vcc_lo
	v_perm_b32 v2, v42, v41, 0x7060302
	v_perm_b32 v1, v40, v39, 0x7060302
	v_perm_b32 v0, v35, v34, 0x7060302
	v_perm_b32 v4, v46, v45, 0x7060302
	s_clause 0x1
	global_store_b128 v[8:9], v[0:3], off offset:-448
	global_store_b128 v[8:9], v[4:7], off offset:-432
.LBB7_380:
	s_or_b32 exec_lo, exec_lo, s7
                                        ; implicit-def: $vgpr33
                                        ; implicit-def: $vgpr35
                                        ; implicit-def: $vgpr37
                                        ; implicit-def: $vgpr1_vgpr2_vgpr3_vgpr4_vgpr5_vgpr6_vgpr7_vgpr8_vgpr9_vgpr10_vgpr11_vgpr12_vgpr13_vgpr14_vgpr15_vgpr16
	s_and_not1_saveexec_b32 s0, s6
	s_cbranch_execz .LBB7_446
.LBB7_381:
	v_and_b32_e32 v0, 0x7f800000, v1
	s_delay_alu instid0(VALU_DEP_1) | instskip(SKIP_1) | instid1(SALU_CYCLE_1)
	v_cmp_ne_u32_e32 vcc_lo, 0x7f800000, v0
                                        ; implicit-def: $vgpr0
	s_and_saveexec_b32 s1, vcc_lo
	s_xor_b32 s1, exec_lo, s1
; %bb.382:
	v_bfe_u32 v0, v1, 16, 1
	s_delay_alu instid0(VALU_DEP_1)
	v_add3_u32 v0, v1, v0, 0x7fff
; %bb.383:
	s_and_not1_saveexec_b32 s1, s1
; %bb.384:
	v_and_b32_e32 v0, 0xffff, v1
	v_or_b32_e32 v17, 0x10000, v1
	s_delay_alu instid0(VALU_DEP_2) | instskip(NEXT) | instid1(VALU_DEP_2)
	v_cmp_eq_u32_e32 vcc_lo, 0, v0
	v_cndmask_b32_e32 v0, v17, v1, vcc_lo
; %bb.385:
	s_or_b32 exec_lo, exec_lo, s1
	v_and_b32_e32 v1, 0x7f800000, v2
	s_mov_b32 s1, exec_lo
                                        ; implicit-def: $vgpr17
	s_delay_alu instid0(VALU_DEP_1)
	v_cmpx_ne_u32_e32 0x7f800000, v1
	s_xor_b32 s1, exec_lo, s1
; %bb.386:
	v_bfe_u32 v1, v2, 16, 1
	s_delay_alu instid0(VALU_DEP_1)
	v_add3_u32 v17, v2, v1, 0x7fff
; %bb.387:
	s_and_not1_saveexec_b32 s1, s1
; %bb.388:
	v_and_b32_e32 v1, 0xffff, v2
	v_or_b32_e32 v17, 0x10000, v2
	s_delay_alu instid0(VALU_DEP_2) | instskip(NEXT) | instid1(VALU_DEP_2)
	v_cmp_eq_u32_e32 vcc_lo, 0, v1
	v_cndmask_b32_e32 v17, v17, v2, vcc_lo
; %bb.389:
	s_or_b32 exec_lo, exec_lo, s1
	v_and_b32_e32 v1, 0x7f800000, v3
	s_mov_b32 s1, exec_lo
                                        ; implicit-def: $vgpr18
	s_delay_alu instid0(VALU_DEP_1)
	v_cmpx_ne_u32_e32 0x7f800000, v1
	s_xor_b32 s1, exec_lo, s1
; %bb.390:
	v_bfe_u32 v1, v3, 16, 1
	s_delay_alu instid0(VALU_DEP_1)
	v_add3_u32 v18, v3, v1, 0x7fff
; %bb.391:
	s_and_not1_saveexec_b32 s1, s1
; %bb.392:
	v_and_b32_e32 v1, 0xffff, v3
	v_or_b32_e32 v2, 0x10000, v3
	s_delay_alu instid0(VALU_DEP_2) | instskip(NEXT) | instid1(VALU_DEP_2)
	v_cmp_eq_u32_e32 vcc_lo, 0, v1
	v_cndmask_b32_e32 v18, v2, v3, vcc_lo
; %bb.393:
	s_or_b32 exec_lo, exec_lo, s1
	v_and_b32_e32 v1, 0x7f800000, v4
	s_mov_b32 s1, exec_lo
                                        ; implicit-def: $vgpr19
	s_delay_alu instid0(VALU_DEP_1)
	v_cmpx_ne_u32_e32 0x7f800000, v1
	s_xor_b32 s1, exec_lo, s1
; %bb.394:
	v_bfe_u32 v1, v4, 16, 1
	s_delay_alu instid0(VALU_DEP_1)
	v_add3_u32 v19, v4, v1, 0x7fff
; %bb.395:
	s_and_not1_saveexec_b32 s1, s1
; %bb.396:
	v_and_b32_e32 v1, 0xffff, v4
	v_or_b32_e32 v2, 0x10000, v4
	s_delay_alu instid0(VALU_DEP_2) | instskip(NEXT) | instid1(VALU_DEP_2)
	v_cmp_eq_u32_e32 vcc_lo, 0, v1
	v_cndmask_b32_e32 v19, v2, v4, vcc_lo
; %bb.397:
	s_or_b32 exec_lo, exec_lo, s1
	v_and_b32_e32 v1, 0x7f800000, v5
	s_mov_b32 s1, exec_lo
                                        ; implicit-def: $vgpr20
	s_delay_alu instid0(VALU_DEP_1)
	v_cmpx_ne_u32_e32 0x7f800000, v1
	s_xor_b32 s1, exec_lo, s1
; %bb.398:
	v_bfe_u32 v1, v5, 16, 1
	s_delay_alu instid0(VALU_DEP_1)
	v_add3_u32 v20, v5, v1, 0x7fff
; %bb.399:
	s_and_not1_saveexec_b32 s1, s1
; %bb.400:
	v_and_b32_e32 v1, 0xffff, v5
	v_or_b32_e32 v2, 0x10000, v5
	s_delay_alu instid0(VALU_DEP_2) | instskip(NEXT) | instid1(VALU_DEP_2)
	v_cmp_eq_u32_e32 vcc_lo, 0, v1
	v_cndmask_b32_e32 v20, v2, v5, vcc_lo
; %bb.401:
	s_or_b32 exec_lo, exec_lo, s1
	v_and_b32_e32 v1, 0x7f800000, v6
	s_mov_b32 s1, exec_lo
                                        ; implicit-def: $vgpr21
	s_delay_alu instid0(VALU_DEP_1)
	v_cmpx_ne_u32_e32 0x7f800000, v1
	s_xor_b32 s1, exec_lo, s1
; %bb.402:
	v_bfe_u32 v1, v6, 16, 1
	s_delay_alu instid0(VALU_DEP_1)
	v_add3_u32 v21, v6, v1, 0x7fff
; %bb.403:
	s_and_not1_saveexec_b32 s1, s1
; %bb.404:
	v_and_b32_e32 v1, 0xffff, v6
	v_or_b32_e32 v2, 0x10000, v6
	s_delay_alu instid0(VALU_DEP_2) | instskip(NEXT) | instid1(VALU_DEP_2)
	v_cmp_eq_u32_e32 vcc_lo, 0, v1
	v_cndmask_b32_e32 v21, v2, v6, vcc_lo
; %bb.405:
	s_or_b32 exec_lo, exec_lo, s1
	v_and_b32_e32 v1, 0x7f800000, v7
	s_mov_b32 s1, exec_lo
                                        ; implicit-def: $vgpr22
	s_delay_alu instid0(VALU_DEP_1)
	v_cmpx_ne_u32_e32 0x7f800000, v1
	s_xor_b32 s1, exec_lo, s1
; %bb.406:
	v_bfe_u32 v1, v7, 16, 1
	s_delay_alu instid0(VALU_DEP_1)
	v_add3_u32 v22, v7, v1, 0x7fff
; %bb.407:
	s_and_not1_saveexec_b32 s1, s1
; %bb.408:
	v_and_b32_e32 v1, 0xffff, v7
	v_or_b32_e32 v2, 0x10000, v7
	s_delay_alu instid0(VALU_DEP_2) | instskip(NEXT) | instid1(VALU_DEP_2)
	v_cmp_eq_u32_e32 vcc_lo, 0, v1
	v_cndmask_b32_e32 v22, v2, v7, vcc_lo
; %bb.409:
	s_or_b32 exec_lo, exec_lo, s1
	s_waitcnt lgkmcnt(0)
	v_and_b32_e32 v1, 0x7f800000, v8
	s_mov_b32 s1, exec_lo
                                        ; implicit-def: $vgpr23
	s_delay_alu instid0(VALU_DEP_1)
	v_cmpx_ne_u32_e32 0x7f800000, v1
	s_xor_b32 s1, exec_lo, s1
; %bb.410:
	v_bfe_u32 v1, v8, 16, 1
	s_delay_alu instid0(VALU_DEP_1)
	v_add3_u32 v23, v8, v1, 0x7fff
; %bb.411:
	s_and_not1_saveexec_b32 s1, s1
; %bb.412:
	v_and_b32_e32 v1, 0xffff, v8
	v_or_b32_e32 v2, 0x10000, v8
	s_delay_alu instid0(VALU_DEP_2) | instskip(NEXT) | instid1(VALU_DEP_2)
	v_cmp_eq_u32_e32 vcc_lo, 0, v1
	v_cndmask_b32_e32 v23, v2, v8, vcc_lo
; %bb.413:
	s_or_b32 exec_lo, exec_lo, s1
	v_and_b32_e32 v1, 0x7f800000, v9
	s_mov_b32 s1, exec_lo
                                        ; implicit-def: $vgpr24
	s_delay_alu instid0(VALU_DEP_1)
	v_cmpx_ne_u32_e32 0x7f800000, v1
	s_xor_b32 s1, exec_lo, s1
; %bb.414:
	v_bfe_u32 v1, v9, 16, 1
	s_delay_alu instid0(VALU_DEP_1)
	v_add3_u32 v24, v9, v1, 0x7fff
; %bb.415:
	s_and_not1_saveexec_b32 s1, s1
; %bb.416:
	v_and_b32_e32 v1, 0xffff, v9
	v_or_b32_e32 v2, 0x10000, v9
	s_delay_alu instid0(VALU_DEP_2) | instskip(NEXT) | instid1(VALU_DEP_2)
	v_cmp_eq_u32_e32 vcc_lo, 0, v1
	v_cndmask_b32_e32 v24, v2, v9, vcc_lo
; %bb.417:
	s_or_b32 exec_lo, exec_lo, s1
	v_and_b32_e32 v1, 0x7f800000, v10
	s_mov_b32 s1, exec_lo
                                        ; implicit-def: $vgpr25
	s_delay_alu instid0(VALU_DEP_1)
	v_cmpx_ne_u32_e32 0x7f800000, v1
	s_xor_b32 s1, exec_lo, s1
; %bb.418:
	v_bfe_u32 v1, v10, 16, 1
	s_delay_alu instid0(VALU_DEP_1)
	v_add3_u32 v25, v10, v1, 0x7fff
; %bb.419:
	s_and_not1_saveexec_b32 s1, s1
; %bb.420:
	v_and_b32_e32 v1, 0xffff, v10
	v_or_b32_e32 v2, 0x10000, v10
	s_delay_alu instid0(VALU_DEP_2) | instskip(NEXT) | instid1(VALU_DEP_2)
	v_cmp_eq_u32_e32 vcc_lo, 0, v1
	v_cndmask_b32_e32 v25, v2, v10, vcc_lo
; %bb.421:
	s_or_b32 exec_lo, exec_lo, s1
	v_and_b32_e32 v1, 0x7f800000, v11
	s_mov_b32 s1, exec_lo
                                        ; implicit-def: $vgpr26
	s_delay_alu instid0(VALU_DEP_1)
	v_cmpx_ne_u32_e32 0x7f800000, v1
	s_xor_b32 s1, exec_lo, s1
; %bb.422:
	v_bfe_u32 v1, v11, 16, 1
	s_delay_alu instid0(VALU_DEP_1)
	v_add3_u32 v26, v11, v1, 0x7fff
; %bb.423:
	s_and_not1_saveexec_b32 s1, s1
; %bb.424:
	v_and_b32_e32 v1, 0xffff, v11
	v_or_b32_e32 v2, 0x10000, v11
	s_delay_alu instid0(VALU_DEP_2) | instskip(NEXT) | instid1(VALU_DEP_2)
	v_cmp_eq_u32_e32 vcc_lo, 0, v1
	v_cndmask_b32_e32 v26, v2, v11, vcc_lo
; %bb.425:
	s_or_b32 exec_lo, exec_lo, s1
	v_and_b32_e32 v1, 0x7f800000, v12
	s_mov_b32 s1, exec_lo
                                        ; implicit-def: $vgpr27
	s_delay_alu instid0(VALU_DEP_1)
	v_cmpx_ne_u32_e32 0x7f800000, v1
	s_xor_b32 s1, exec_lo, s1
; %bb.426:
	v_bfe_u32 v1, v12, 16, 1
	s_delay_alu instid0(VALU_DEP_1)
	v_add3_u32 v27, v12, v1, 0x7fff
; %bb.427:
	s_and_not1_saveexec_b32 s1, s1
; %bb.428:
	v_and_b32_e32 v1, 0xffff, v12
	v_or_b32_e32 v2, 0x10000, v12
	s_delay_alu instid0(VALU_DEP_2) | instskip(NEXT) | instid1(VALU_DEP_2)
	v_cmp_eq_u32_e32 vcc_lo, 0, v1
	v_cndmask_b32_e32 v27, v2, v12, vcc_lo
; %bb.429:
	s_or_b32 exec_lo, exec_lo, s1
	v_and_b32_e32 v1, 0x7f800000, v13
	s_mov_b32 s1, exec_lo
                                        ; implicit-def: $vgpr28
	s_delay_alu instid0(VALU_DEP_1)
	v_cmpx_ne_u32_e32 0x7f800000, v1
	s_xor_b32 s1, exec_lo, s1
; %bb.430:
	v_bfe_u32 v1, v13, 16, 1
	s_delay_alu instid0(VALU_DEP_1)
	v_add3_u32 v28, v13, v1, 0x7fff
; %bb.431:
	s_and_not1_saveexec_b32 s1, s1
; %bb.432:
	v_and_b32_e32 v1, 0xffff, v13
	v_or_b32_e32 v2, 0x10000, v13
	s_delay_alu instid0(VALU_DEP_2) | instskip(NEXT) | instid1(VALU_DEP_2)
	v_cmp_eq_u32_e32 vcc_lo, 0, v1
	v_cndmask_b32_e32 v28, v2, v13, vcc_lo
; %bb.433:
	s_or_b32 exec_lo, exec_lo, s1
	v_and_b32_e32 v1, 0x7f800000, v14
	s_mov_b32 s1, exec_lo
                                        ; implicit-def: $vgpr29
	s_delay_alu instid0(VALU_DEP_1)
	v_cmpx_ne_u32_e32 0x7f800000, v1
	s_xor_b32 s1, exec_lo, s1
; %bb.434:
	v_bfe_u32 v1, v14, 16, 1
	s_delay_alu instid0(VALU_DEP_1)
	v_add3_u32 v29, v14, v1, 0x7fff
; %bb.435:
	s_and_not1_saveexec_b32 s1, s1
; %bb.436:
	v_and_b32_e32 v1, 0xffff, v14
	v_or_b32_e32 v2, 0x10000, v14
	s_delay_alu instid0(VALU_DEP_2) | instskip(NEXT) | instid1(VALU_DEP_2)
	v_cmp_eq_u32_e32 vcc_lo, 0, v1
	v_cndmask_b32_e32 v29, v2, v14, vcc_lo
; %bb.437:
	s_or_b32 exec_lo, exec_lo, s1
	v_and_b32_e32 v1, 0x7f800000, v15
	s_mov_b32 s1, exec_lo
                                        ; implicit-def: $vgpr30
	s_delay_alu instid0(VALU_DEP_1)
	v_cmpx_ne_u32_e32 0x7f800000, v1
	s_xor_b32 s1, exec_lo, s1
; %bb.438:
	v_bfe_u32 v1, v15, 16, 1
	s_delay_alu instid0(VALU_DEP_1)
	v_add3_u32 v30, v15, v1, 0x7fff
; %bb.439:
	s_and_not1_saveexec_b32 s1, s1
; %bb.440:
	v_and_b32_e32 v1, 0xffff, v15
	v_or_b32_e32 v2, 0x10000, v15
	s_delay_alu instid0(VALU_DEP_2) | instskip(NEXT) | instid1(VALU_DEP_2)
	v_cmp_eq_u32_e32 vcc_lo, 0, v1
	v_cndmask_b32_e32 v30, v2, v15, vcc_lo
; %bb.441:
	s_or_b32 exec_lo, exec_lo, s1
	v_and_b32_e32 v1, 0x7f800000, v16
	s_mov_b32 s1, exec_lo
                                        ; implicit-def: $vgpr31
	s_delay_alu instid0(VALU_DEP_1)
	v_cmpx_ne_u32_e32 0x7f800000, v1
	s_xor_b32 s1, exec_lo, s1
; %bb.442:
	v_bfe_u32 v1, v16, 16, 1
	s_delay_alu instid0(VALU_DEP_1)
	v_add3_u32 v31, v16, v1, 0x7fff
                                        ; implicit-def: $vgpr1_vgpr2_vgpr3_vgpr4_vgpr5_vgpr6_vgpr7_vgpr8_vgpr9_vgpr10_vgpr11_vgpr12_vgpr13_vgpr14_vgpr15_vgpr16
; %bb.443:
	s_and_not1_saveexec_b32 s1, s1
; %bb.444:
	v_and_b32_e32 v1, 0xffff, v16
	v_or_b32_e32 v2, 0x10000, v16
	s_delay_alu instid0(VALU_DEP_2) | instskip(NEXT) | instid1(VALU_DEP_2)
	v_cmp_eq_u32_e32 vcc_lo, 0, v1
	v_cndmask_b32_e32 v31, v2, v16, vcc_lo
; %bb.445:
	s_or_b32 exec_lo, exec_lo, s1
	v_ashrrev_i32_e32 v36, 31, v35
	v_lshlrev_b64 v[1:2], 15, v[33:34]
	v_lshlrev_b32_e32 v5, 1, v37
	v_perm_b32 v0, v17, v0, 0x7060302
	v_perm_b32 v7, v31, v30, 0x7060302
	v_lshlrev_b64 v[3:4], 10, v[35:36]
	v_perm_b32 v6, v29, v28, 0x7060302
	v_add_co_u32 v1, vcc_lo, s12, v1
	v_add_co_ci_u32_e32 v2, vcc_lo, s13, v2, vcc_lo
	s_delay_alu instid0(VALU_DEP_2) | instskip(NEXT) | instid1(VALU_DEP_2)
	v_add_co_u32 v1, vcc_lo, v1, v3
	v_add_co_ci_u32_e32 v2, vcc_lo, v2, v4, vcc_lo
	v_perm_b32 v3, v23, v22, 0x7060302
	s_delay_alu instid0(VALU_DEP_3) | instskip(NEXT) | instid1(VALU_DEP_3)
	v_add_co_u32 v8, vcc_lo, v1, v5
	v_add_co_ci_u32_e32 v9, vcc_lo, 0, v2, vcc_lo
	v_perm_b32 v2, v21, v20, 0x7060302
	v_perm_b32 v1, v19, v18, 0x7060302
	;; [unrolled: 1-line block ×4, first 2 shown]
	s_clause 0x1
	global_store_b128 v[8:9], v[0:3], off
	global_store_b128 v[8:9], v[4:7], off offset:16
.LBB7_446:
	s_or_b32 exec_lo, exec_lo, s0
                                        ; implicit-def: $vgpr33
                                        ; implicit-def: $vgpr35
                                        ; implicit-def: $vgpr37
.LBB7_447:
	s_and_not1_saveexec_b32 s0, s9
	s_cbranch_execz .LBB7_449
; %bb.448:
	v_ashrrev_i32_e32 v36, 31, v35
	v_lshlrev_b64 v[0:1], 15, v[33:34]
	s_mov_b32 s0, 0
	s_delay_alu instid0(SALU_CYCLE_1) | instskip(NEXT) | instid1(VALU_DEP_2)
	s_mov_b32 s1, s0
	v_lshlrev_b64 v[2:3], 10, v[35:36]
	s_mov_b32 s2, s0
	s_waitcnt lgkmcnt(0)
	v_add_co_u32 v0, vcc_lo, s12, v0
	v_add_co_ci_u32_e32 v1, vcc_lo, s13, v1, vcc_lo
	s_mov_b32 s3, s0
	v_lshlrev_b32_e32 v4, 1, v37
	s_waitcnt vmcnt(1)
	v_add_co_u32 v5, vcc_lo, v0, v2
	v_add_co_ci_u32_e32 v6, vcc_lo, v1, v3, vcc_lo
	v_dual_mov_b32 v0, s0 :: v_dual_mov_b32 v3, s3
	v_mov_b32_e32 v1, s1
	s_delay_alu instid0(VALU_DEP_4)
	v_add_co_u32 v4, vcc_lo, v5, v4
	v_mov_b32_e32 v2, s2
	v_add_co_ci_u32_e32 v5, vcc_lo, 0, v6, vcc_lo
	s_clause 0x1
	global_store_b128 v[4:5], v[0:3], off
	global_store_b128 v[4:5], v[0:3], off offset:16
.LBB7_449:
	s_nop 0
	s_sendmsg sendmsg(MSG_DEALLOC_VGPRS)
	s_endpgm
	.section	.rodata,"a",@progbits
	.p2align	6, 0x0
	.amdhsa_kernel _ZN4vllm21deepseek_v4_fused_ops47fusedDeepseekV4QNormRopeKVRopeQuantInsertKernelIN3c108BFloat16ELi32EEEvPKT_PS4_S6_PhPKlSA_PKffiiiii
		.amdhsa_group_segment_fixed_size 0
		.amdhsa_private_segment_fixed_size 0
		.amdhsa_kernarg_size 336
		.amdhsa_user_sgpr_count 15
		.amdhsa_user_sgpr_dispatch_ptr 0
		.amdhsa_user_sgpr_queue_ptr 0
		.amdhsa_user_sgpr_kernarg_segment_ptr 1
		.amdhsa_user_sgpr_dispatch_id 0
		.amdhsa_user_sgpr_private_segment_size 0
		.amdhsa_wavefront_size32 1
		.amdhsa_uses_dynamic_stack 0
		.amdhsa_enable_private_segment 0
		.amdhsa_system_sgpr_workgroup_id_x 1
		.amdhsa_system_sgpr_workgroup_id_y 0
		.amdhsa_system_sgpr_workgroup_id_z 0
		.amdhsa_system_sgpr_workgroup_info 0
		.amdhsa_system_vgpr_workitem_id 0
		.amdhsa_next_free_vgpr 53
		.amdhsa_next_free_sgpr 22
		.amdhsa_reserve_vcc 1
		.amdhsa_float_round_mode_32 0
		.amdhsa_float_round_mode_16_64 0
		.amdhsa_float_denorm_mode_32 3
		.amdhsa_float_denorm_mode_16_64 3
		.amdhsa_dx10_clamp 1
		.amdhsa_ieee_mode 1
		.amdhsa_fp16_overflow 0
		.amdhsa_workgroup_processor_mode 1
		.amdhsa_memory_ordered 1
		.amdhsa_forward_progress 0
		.amdhsa_shared_vgpr_count 0
		.amdhsa_exception_fp_ieee_invalid_op 0
		.amdhsa_exception_fp_denorm_src 0
		.amdhsa_exception_fp_ieee_div_zero 0
		.amdhsa_exception_fp_ieee_overflow 0
		.amdhsa_exception_fp_ieee_underflow 0
		.amdhsa_exception_fp_ieee_inexact 0
		.amdhsa_exception_int_div_zero 0
	.end_amdhsa_kernel
	.section	.text._ZN4vllm21deepseek_v4_fused_ops47fusedDeepseekV4QNormRopeKVRopeQuantInsertKernelIN3c108BFloat16ELi32EEEvPKT_PS4_S6_PhPKlSA_PKffiiiii,"axG",@progbits,_ZN4vllm21deepseek_v4_fused_ops47fusedDeepseekV4QNormRopeKVRopeQuantInsertKernelIN3c108BFloat16ELi32EEEvPKT_PS4_S6_PhPKlSA_PKffiiiii,comdat
.Lfunc_end7:
	.size	_ZN4vllm21deepseek_v4_fused_ops47fusedDeepseekV4QNormRopeKVRopeQuantInsertKernelIN3c108BFloat16ELi32EEEvPKT_PS4_S6_PhPKlSA_PKffiiiii, .Lfunc_end7-_ZN4vllm21deepseek_v4_fused_ops47fusedDeepseekV4QNormRopeKVRopeQuantInsertKernelIN3c108BFloat16ELi32EEEvPKT_PS4_S6_PhPKlSA_PKffiiiii
                                        ; -- End function
	.section	.AMDGPU.csdata,"",@progbits
; Kernel info:
; codeLenInByte = 16800
; NumSgprs: 24
; NumVgprs: 53
; ScratchSize: 0
; MemoryBound: 1
; FloatMode: 240
; IeeeMode: 1
; LDSByteSize: 0 bytes/workgroup (compile time only)
; SGPRBlocks: 2
; VGPRBlocks: 6
; NumSGPRsForWavesPerEU: 24
; NumVGPRsForWavesPerEU: 53
; Occupancy: 16
; WaveLimiterHint : 1
; COMPUTE_PGM_RSRC2:SCRATCH_EN: 0
; COMPUTE_PGM_RSRC2:USER_SGPR: 15
; COMPUTE_PGM_RSRC2:TRAP_HANDLER: 0
; COMPUTE_PGM_RSRC2:TGID_X_EN: 1
; COMPUTE_PGM_RSRC2:TGID_Y_EN: 0
; COMPUTE_PGM_RSRC2:TGID_Z_EN: 0
; COMPUTE_PGM_RSRC2:TIDIG_COMP_CNT: 0
	.section	.text._ZN4vllm21deepseek_v4_fused_ops47fusedDeepseekV4QNormRopeKVRopeQuantInsertKernelIN3c108BFloat16ELi64EEEvPKT_PS4_S6_PhPKlSA_PKffiiiii,"axG",@progbits,_ZN4vllm21deepseek_v4_fused_ops47fusedDeepseekV4QNormRopeKVRopeQuantInsertKernelIN3c108BFloat16ELi64EEEvPKT_PS4_S6_PhPKlSA_PKffiiiii,comdat
	.protected	_ZN4vllm21deepseek_v4_fused_ops47fusedDeepseekV4QNormRopeKVRopeQuantInsertKernelIN3c108BFloat16ELi64EEEvPKT_PS4_S6_PhPKlSA_PKffiiiii ; -- Begin function _ZN4vllm21deepseek_v4_fused_ops47fusedDeepseekV4QNormRopeKVRopeQuantInsertKernelIN3c108BFloat16ELi64EEEvPKT_PS4_S6_PhPKlSA_PKffiiiii
	.globl	_ZN4vllm21deepseek_v4_fused_ops47fusedDeepseekV4QNormRopeKVRopeQuantInsertKernelIN3c108BFloat16ELi64EEEvPKT_PS4_S6_PhPKlSA_PKffiiiii
	.p2align	8
	.type	_ZN4vllm21deepseek_v4_fused_ops47fusedDeepseekV4QNormRopeKVRopeQuantInsertKernelIN3c108BFloat16ELi64EEEvPKT_PS4_S6_PhPKlSA_PKffiiiii,@function
_ZN4vllm21deepseek_v4_fused_ops47fusedDeepseekV4QNormRopeKVRopeQuantInsertKernelIN3c108BFloat16ELi64EEEvPKT_PS4_S6_PhPKlSA_PKffiiiii: ; @_ZN4vllm21deepseek_v4_fused_ops47fusedDeepseekV4QNormRopeKVRopeQuantInsertKernelIN3c108BFloat16ELi64EEEvPKT_PS4_S6_PhPKlSA_PKffiiiii
; %bb.0:
	s_clause 0x1
	s_load_b32 s2, s[0:1], 0x5c
	s_load_b128 s[8:11], s[0:1], 0x38
	v_lshrrev_b32_e32 v3, 5, v0
	s_waitcnt lgkmcnt(0)
	s_bfe_u32 s2, s2, 0xb0005
	s_delay_alu instid0(VALU_DEP_1) | instid1(SALU_CYCLE_1)
	v_mad_u64_u32 v[1:2], null, s15, s2, v[3:4]
	s_mov_b32 s2, exec_lo
	s_delay_alu instid0(VALU_DEP_1) | instskip(NEXT) | instid1(VALU_DEP_1)
	v_mul_hi_i32 v2, 0x7e07e07f, v1
	v_lshrrev_b32_e32 v3, 31, v2
	v_ashrrev_i32_e32 v2, 5, v2
	s_delay_alu instid0(VALU_DEP_1) | instskip(NEXT) | instid1(VALU_DEP_1)
	v_add_nc_u32_e32 v33, v2, v3
	v_cmpx_gt_i32_e64 s9, v33
	s_cbranch_execz .LBB8_449
; %bb.1:
	s_load_b64 s[14:15], s[0:1], 0x48
	v_lshl_add_u32 v2, v33, 6, v33
	v_cmp_gt_i32_e64 s3, s10, v33
	s_delay_alu instid0(VALU_DEP_2) | instskip(NEXT) | instid1(VALU_DEP_1)
	v_sub_nc_u32_e32 v35, v1, v2
	v_cmp_ne_u32_e64 s2, 64, v35
	v_cmp_eq_u32_e32 vcc_lo, 64, v35
	s_delay_alu instid0(VALU_DEP_2) | instskip(NEXT) | instid1(SALU_CYCLE_1)
	s_or_b32 s3, s2, s3
	s_and_b32 exec_lo, exec_lo, s3
	s_cbranch_execz .LBB8_449
; %bb.2:
	s_clause 0x2
	s_load_b64 s[12:13], s[0:1], 0x8
	s_load_b128 s[4:7], s[0:1], 0x20
	s_load_b64 s[16:17], s[0:1], 0x30
	v_and_b32_e32 v38, 31, v0
	v_cmp_gt_i32_e64 s3, s11, v35
	v_ashrrev_i32_e32 v34, 31, v33
	s_xor_b32 s9, s2, -1
                                        ; implicit-def: $vgpr8
                                        ; implicit-def: $vgpr16
	s_delay_alu instid0(VALU_DEP_3) | instskip(NEXT) | instid1(VALU_DEP_3)
	v_lshlrev_b32_e32 v37, 4, v38
	s_or_b32 s9, s9, s3
	s_delay_alu instid0(SALU_CYCLE_1)
	s_and_saveexec_b32 s10, s9
	s_cbranch_execz .LBB8_8
; %bb.3:
                                        ; implicit-def: $vgpr1_vgpr2
	s_and_saveexec_b32 s3, vcc_lo
	s_delay_alu instid0(SALU_CYCLE_1)
	s_xor_b32 s18, exec_lo, s3
	s_cbranch_execz .LBB8_5
; %bb.4:
	s_load_b64 s[20:21], s[0:1], 0x10
	v_lshlrev_b64 v[1:2], 10, v[33:34]
	v_lshlrev_b32_e32 v3, 1, v37
	s_waitcnt lgkmcnt(0)
	s_delay_alu instid0(VALU_DEP_2) | instskip(NEXT) | instid1(VALU_DEP_1)
	v_add_co_u32 v1, s3, s20, v1
	v_add_co_ci_u32_e64 v2, s3, s21, v2, s3
	s_delay_alu instid0(VALU_DEP_2) | instskip(NEXT) | instid1(VALU_DEP_1)
	v_add_co_u32 v1, s3, v1, v3
	v_add_co_ci_u32_e64 v2, s3, 0, v2, s3
.LBB8_5:
	s_and_not1_saveexec_b32 s18, s18
	s_cbranch_execz .LBB8_7
; %bb.6:
	v_ashrrev_i32_e32 v36, 31, v35
	s_load_b64 s[20:21], s[0:1], 0x0
	s_delay_alu instid0(VALU_DEP_1) | instskip(NEXT) | instid1(VALU_DEP_1)
	v_mad_i64_i32 v[1:2], null, v33, s11, v[35:36]
	v_lshlrev_b64 v[1:2], 10, v[1:2]
	s_delay_alu instid0(VALU_DEP_1) | instskip(SKIP_1) | instid1(VALU_DEP_1)
	v_lshl_or_b32 v1, v37, 1, v1
	s_waitcnt lgkmcnt(0)
	v_add_co_u32 v1, s3, s20, v1
	s_delay_alu instid0(VALU_DEP_1)
	v_add_co_ci_u32_e64 v2, s3, s21, v2, s3
.LBB8_7:
	s_or_b32 exec_lo, exec_lo, s18
	s_clause 0x1
	global_load_b128 v[5:8], v[1:2], off
	global_load_b128 v[13:16], v[1:2], off offset:16
.LBB8_8:
	s_or_b32 exec_lo, exec_lo, s10
	s_load_b64 s[10:11], s[0:1], 0x18
	s_and_saveexec_b32 s0, s9
	s_delay_alu instid0(SALU_CYCLE_1)
	s_xor_b32 s9, exec_lo, s0
	s_cbranch_execz .LBB8_447
; %bb.9:
	s_waitcnt vmcnt(1)
	v_lshlrev_b32_e32 v1, 16, v5
	v_and_b32_e32 v2, 0xffff0000, v5
	v_lshlrev_b32_e32 v3, 16, v6
	v_and_b32_e32 v4, 0xffff0000, v6
	v_lshlrev_b32_e32 v5, 16, v7
	v_and_b32_e32 v6, 0xffff0000, v7
	v_lshlrev_b32_e32 v7, 16, v8
	v_and_b32_e32 v8, 0xffff0000, v8
	s_waitcnt vmcnt(0)
	v_lshlrev_b32_e32 v9, 16, v13
	v_and_b32_e32 v10, 0xffff0000, v13
	v_lshlrev_b32_e32 v11, 16, v14
	v_and_b32_e32 v12, 0xffff0000, v14
	;; [unrolled: 2-line block ×4, first 2 shown]
	s_and_saveexec_b32 s1, s2
	s_cbranch_execz .LBB8_11
; %bb.10:
	v_mbcnt_lo_u32_b32 v18, -1, 0
	s_delay_alu instid0(VALU_DEP_1) | instskip(SKIP_1) | instid1(VALU_DEP_2)
	v_xor_b32_e32 v19, 16, v18
	v_xor_b32_e32 v20, 8, v18
	v_cmp_gt_i32_e64 s0, 32, v19
	s_delay_alu instid0(VALU_DEP_1) | instskip(NEXT) | instid1(VALU_DEP_3)
	v_cndmask_b32_e64 v19, v18, v19, s0
	v_cmp_gt_i32_e64 s0, 32, v20
	s_delay_alu instid0(VALU_DEP_2) | instskip(NEXT) | instid1(VALU_DEP_2)
	v_lshlrev_b32_e32 v19, 2, v19
	v_cndmask_b32_e64 v20, v18, v20, s0
	s_delay_alu instid0(VALU_DEP_1) | instskip(NEXT) | instid1(VALU_DEP_1)
	v_dual_mul_f32 v17, v2, v2 :: v_dual_lshlrev_b32 v20, 2, v20
	v_fmac_f32_e32 v17, v1, v1
	s_delay_alu instid0(VALU_DEP_1) | instskip(NEXT) | instid1(VALU_DEP_1)
	v_fmac_f32_e32 v17, v3, v3
	v_fmac_f32_e32 v17, v4, v4
	s_delay_alu instid0(VALU_DEP_1) | instskip(NEXT) | instid1(VALU_DEP_1)
	v_fmac_f32_e32 v17, v5, v5
	;; [unrolled: 3-line block ×7, first 2 shown]
	v_fmac_f32_e32 v17, v16, v16
	ds_bpermute_b32 v19, v19, v17
	s_waitcnt lgkmcnt(0)
	v_add_f32_e32 v17, v17, v19
	ds_bpermute_b32 v19, v20, v17
	v_xor_b32_e32 v20, 4, v18
	s_delay_alu instid0(VALU_DEP_1) | instskip(NEXT) | instid1(VALU_DEP_1)
	v_cmp_gt_i32_e64 s0, 32, v20
	v_cndmask_b32_e64 v20, v18, v20, s0
	s_waitcnt lgkmcnt(0)
	s_delay_alu instid0(VALU_DEP_1) | instskip(SKIP_2) | instid1(VALU_DEP_1)
	v_dual_add_f32 v17, v17, v19 :: v_dual_lshlrev_b32 v20, 2, v20
	ds_bpermute_b32 v19, v20, v17
	v_xor_b32_e32 v20, 2, v18
	v_cmp_gt_i32_e64 s0, 32, v20
	s_delay_alu instid0(VALU_DEP_1) | instskip(SKIP_1) | instid1(VALU_DEP_1)
	v_cndmask_b32_e64 v20, v18, v20, s0
	s_waitcnt lgkmcnt(0)
	v_dual_add_f32 v17, v17, v19 :: v_dual_lshlrev_b32 v20, 2, v20
	ds_bpermute_b32 v19, v20, v17
	v_xor_b32_e32 v20, 1, v18
	s_delay_alu instid0(VALU_DEP_1) | instskip(NEXT) | instid1(VALU_DEP_1)
	v_cmp_gt_i32_e64 s0, 32, v20
	v_cndmask_b32_e64 v18, v18, v20, s0
	s_waitcnt lgkmcnt(0)
	s_delay_alu instid0(VALU_DEP_1) | instskip(SKIP_4) | instid1(VALU_DEP_1)
	v_dual_add_f32 v17, v17, v19 :: v_dual_lshlrev_b32 v18, 2, v18
	v_mov_b32_e32 v19, s8
	ds_bpermute_b32 v18, v18, v17
	s_waitcnt lgkmcnt(0)
	v_add_f32_e32 v17, v17, v18
	v_fmamk_f32 v17, v17, 0x3b000000, v19
	s_delay_alu instid0(VALU_DEP_1) | instskip(SKIP_1) | instid1(VALU_DEP_1)
	v_mul_f32_e32 v18, 0x4b800000, v17
	v_cmp_gt_f32_e64 s0, 0x800000, v17
	v_cndmask_b32_e64 v17, v17, v18, s0
	s_delay_alu instid0(VALU_DEP_1) | instskip(SKIP_2) | instid1(VALU_DEP_1)
	v_rsq_f32_e32 v17, v17
	s_waitcnt_depctr 0xfff
	v_mul_f32_e32 v18, 0x45800000, v17
	v_cndmask_b32_e64 v17, v17, v18, s0
	s_delay_alu instid0(VALU_DEP_1)
	v_mul_f32_e32 v1, v17, v1
	v_mul_f32_e32 v2, v17, v2
	;; [unrolled: 1-line block ×16, first 2 shown]
.LBB8_11:
	s_or_b32 exec_lo, exec_lo, s1
	v_cmp_gt_u32_e64 s0, 28, v38
	s_mov_b32 s2, exec_lo
	v_cmpx_lt_u32_e32 27, v38
	s_cbranch_execz .LBB8_14
; %bb.12:
	v_lshlrev_b64 v[17:18], 3, v[33:34]
	v_dual_mov_b32 v20, 0 :: v_dual_add_nc_u32 v19, 0xfffffe40, v37
	s_delay_alu instid0(VALU_DEP_1) | instskip(SKIP_1) | instid1(VALU_DEP_3)
	v_lshrrev_b32_e32 v19, 1, v19
	s_waitcnt lgkmcnt(0)
	v_add_co_u32 v17, s1, s6, v17
	s_delay_alu instid0(VALU_DEP_1) | instskip(NEXT) | instid1(VALU_DEP_3)
	v_add_co_ci_u32_e64 v18, s1, s7, v18, s1
	v_lshlrev_b64 v[19:20], 2, v[19:20]
	global_load_b64 v[17:18], v[17:18], off
	s_waitcnt vmcnt(0)
	v_lshlrev_b64 v[17:18], 8, v[17:18]
	s_delay_alu instid0(VALU_DEP_1) | instskip(NEXT) | instid1(VALU_DEP_1)
	v_add_co_u32 v17, s1, s16, v17
	v_add_co_ci_u32_e64 v18, s1, s17, v18, s1
	s_delay_alu instid0(VALU_DEP_2) | instskip(NEXT) | instid1(VALU_DEP_1)
	v_add_co_u32 v17, s1, v17, v19
	v_add_co_ci_u32_e64 v18, s1, v18, v20, s1
	s_clause 0x3
	global_load_b128 v[20:23], v[17:18], off offset:128
	global_load_b128 v[28:31], v[17:18], off offset:144
	global_load_b128 v[39:42], v[17:18], off
	global_load_b128 v[43:46], v[17:18], off offset:16
	s_waitcnt vmcnt(3)
	v_mul_f32_e32 v17, v2, v20
	v_dual_mul_f32 v18, v1, v20 :: v_dual_mul_f32 v19, v4, v21
	v_dual_mul_f32 v20, v3, v21 :: v_dual_mul_f32 v21, v6, v22
	v_mul_f32_e32 v24, v7, v23
	v_dual_mul_f32 v22, v5, v22 :: v_dual_mul_f32 v25, v8, v23
	s_waitcnt vmcnt(2)
	v_dual_mul_f32 v27, v10, v28 :: v_dual_mul_f32 v36, v12, v29
	v_mul_f32_e32 v26, v9, v28
	v_dual_mul_f32 v28, v11, v29 :: v_dual_mul_f32 v47, v16, v31
	v_mul_f32_e32 v29, v14, v30
	v_mul_f32_e32 v30, v13, v30
	;; [unrolled: 1-line block ×3, first 2 shown]
	s_waitcnt vmcnt(1)
	v_fma_f32 v17, v1, v39, -v17
	v_fmac_f32_e32 v18, v2, v39
	v_fma_f32 v19, v3, v40, -v19
	v_fmac_f32_e32 v20, v4, v40
	;; [unrolled: 2-line block ×4, first 2 shown]
	s_waitcnt vmcnt(0)
	v_fma_f32 v25, v9, v43, -v27
	v_fmac_f32_e32 v26, v10, v43
	v_fma_f32 v27, v11, v44, -v36
	v_fmac_f32_e32 v28, v12, v44
	v_fma_f32 v29, v13, v45, -v29
	v_fmac_f32_e32 v30, v14, v45
	v_fma_f32 v31, v15, v46, -v47
	v_fmac_f32_e32 v32, v16, v46
	v_dual_mov_b32 v1, v17 :: v_dual_mov_b32 v2, v18
	v_dual_mov_b32 v3, v19 :: v_dual_mov_b32 v4, v20
	;; [unrolled: 1-line block ×8, first 2 shown]
	s_or_b32 exec_lo, exec_lo, s2
	s_and_saveexec_b32 s1, vcc_lo
	s_delay_alu instid0(SALU_CYCLE_1)
	s_xor_b32 s6, exec_lo, s1
	s_cbranch_execnz .LBB8_15
.LBB8_13:
	s_and_not1_saveexec_b32 s0, s6
	s_cbranch_execnz .LBB8_381
	s_branch .LBB8_446
.LBB8_14:
	s_or_b32 exec_lo, exec_lo, s2
	s_and_saveexec_b32 s1, vcc_lo
	s_waitcnt lgkmcnt(0)
	s_xor_b32 s6, exec_lo, s1
	s_cbranch_execz .LBB8_13
.LBB8_15:
	v_lshlrev_b64 v[17:18], 3, v[33:34]
	s_mov_b32 s7, exec_lo
	s_delay_alu instid0(VALU_DEP_1) | instskip(NEXT) | instid1(VALU_DEP_2)
	v_add_co_u32 v17, vcc_lo, s4, v17
	v_add_co_ci_u32_e32 v18, vcc_lo, s5, v18, vcc_lo
	global_load_b64 v[17:18], v[17:18], off
	s_waitcnt vmcnt(0)
	v_cmpx_lt_i64_e32 -1, v[17:18]
                                        ; implicit-def: $vgpr34
	s_cbranch_execz .LBB8_380
; %bb.16:
	s_ashr_i32 s16, s14, 31
	v_mov_b32_e32 v19, 0
	v_or_b32_e32 v20, s16, v18
	s_mov_b32 s8, s14
	s_delay_alu instid0(VALU_DEP_1) | instskip(SKIP_1) | instid1(SALU_CYCLE_1)
	v_cmp_ne_u64_e32 vcc_lo, 0, v[19:20]
                                        ; implicit-def: $vgpr19_vgpr20
	s_and_saveexec_b32 s1, vcc_lo
	s_xor_b32 s14, exec_lo, s1
	s_cbranch_execz .LBB8_18
; %bb.17:
	s_add_u32 s4, s8, s16
	s_mov_b32 s2, s16
	s_mov_b32 s3, s16
	s_addc_u32 s5, s16, s16
	s_delay_alu instid0(SALU_CYCLE_1) | instskip(NEXT) | instid1(SALU_CYCLE_1)
	s_xor_b64 s[4:5], s[4:5], s[2:3]
	v_cvt_f32_u32_e32 v19, s4
	v_cvt_f32_u32_e32 v20, s5
	s_sub_u32 s1, 0, s4
	s_subb_u32 s17, 0, s5
	s_delay_alu instid0(VALU_DEP_1) | instskip(NEXT) | instid1(VALU_DEP_1)
	v_fmamk_f32 v19, v20, 0x4f800000, v19
	v_rcp_f32_e32 v19, v19
	s_waitcnt_depctr 0xfff
	v_mul_f32_e32 v19, 0x5f7ffffc, v19
	s_delay_alu instid0(VALU_DEP_1) | instskip(NEXT) | instid1(VALU_DEP_1)
	v_mul_f32_e32 v20, 0x2f800000, v19
	v_trunc_f32_e32 v20, v20
	s_delay_alu instid0(VALU_DEP_1) | instskip(SKIP_1) | instid1(VALU_DEP_2)
	v_fmamk_f32 v19, v20, 0xcf800000, v19
	v_cvt_u32_f32_e32 v20, v20
	v_cvt_u32_f32_e32 v19, v19
	s_delay_alu instid0(VALU_DEP_2) | instskip(NEXT) | instid1(VALU_DEP_2)
	v_mul_lo_u32 v21, s1, v20
	v_mul_hi_u32 v22, s1, v19
	v_mul_lo_u32 v23, s17, v19
	s_delay_alu instid0(VALU_DEP_2) | instskip(SKIP_1) | instid1(VALU_DEP_2)
	v_add_nc_u32_e32 v21, v22, v21
	v_mul_lo_u32 v22, s1, v19
	v_add_nc_u32_e32 v21, v21, v23
	s_delay_alu instid0(VALU_DEP_2) | instskip(NEXT) | instid1(VALU_DEP_2)
	v_mul_hi_u32 v23, v19, v22
	v_mul_lo_u32 v24, v19, v21
	v_mul_hi_u32 v25, v19, v21
	v_mul_hi_u32 v26, v20, v22
	v_mul_lo_u32 v22, v20, v22
	v_mul_hi_u32 v27, v20, v21
	v_mul_lo_u32 v21, v20, v21
	v_add_co_u32 v23, vcc_lo, v23, v24
	v_add_co_ci_u32_e32 v24, vcc_lo, 0, v25, vcc_lo
	s_delay_alu instid0(VALU_DEP_2) | instskip(NEXT) | instid1(VALU_DEP_2)
	v_add_co_u32 v22, vcc_lo, v23, v22
	v_add_co_ci_u32_e32 v22, vcc_lo, v24, v26, vcc_lo
	v_add_co_ci_u32_e32 v23, vcc_lo, 0, v27, vcc_lo
	v_ashrrev_i32_e32 v26, 31, v18
	s_delay_alu instid0(VALU_DEP_3) | instskip(NEXT) | instid1(VALU_DEP_3)
	v_add_co_u32 v21, vcc_lo, v22, v21
	v_add_co_ci_u32_e32 v22, vcc_lo, 0, v23, vcc_lo
	s_delay_alu instid0(VALU_DEP_2) | instskip(NEXT) | instid1(VALU_DEP_2)
	v_add_co_u32 v19, vcc_lo, v19, v21
	v_add_co_ci_u32_e32 v20, vcc_lo, v20, v22, vcc_lo
	s_delay_alu instid0(VALU_DEP_2) | instskip(SKIP_1) | instid1(VALU_DEP_3)
	v_mul_hi_u32 v21, s1, v19
	v_mul_lo_u32 v23, s17, v19
	v_mul_lo_u32 v22, s1, v20
	s_delay_alu instid0(VALU_DEP_1) | instskip(SKIP_1) | instid1(VALU_DEP_2)
	v_add_nc_u32_e32 v21, v21, v22
	v_mul_lo_u32 v22, s1, v19
	v_add_nc_u32_e32 v21, v21, v23
	s_delay_alu instid0(VALU_DEP_2) | instskip(NEXT) | instid1(VALU_DEP_2)
	v_mul_hi_u32 v23, v19, v22
	v_mul_lo_u32 v24, v19, v21
	v_mul_hi_u32 v25, v19, v21
	v_mul_hi_u32 v27, v20, v22
	v_mul_lo_u32 v22, v20, v22
	v_mul_hi_u32 v28, v20, v21
	v_mul_lo_u32 v21, v20, v21
	v_add_co_u32 v23, vcc_lo, v23, v24
	v_add_co_ci_u32_e32 v24, vcc_lo, 0, v25, vcc_lo
	s_delay_alu instid0(VALU_DEP_2) | instskip(NEXT) | instid1(VALU_DEP_2)
	v_add_co_u32 v22, vcc_lo, v23, v22
	v_add_co_ci_u32_e32 v22, vcc_lo, v24, v27, vcc_lo
	v_add_co_ci_u32_e32 v23, vcc_lo, 0, v28, vcc_lo
	v_add_co_u32 v24, vcc_lo, v17, v26
	v_add_co_ci_u32_e32 v25, vcc_lo, v18, v26, vcc_lo
	s_delay_alu instid0(VALU_DEP_4) | instskip(NEXT) | instid1(VALU_DEP_4)
	v_add_co_u32 v21, vcc_lo, v22, v21
	v_add_co_ci_u32_e32 v22, vcc_lo, 0, v23, vcc_lo
	s_delay_alu instid0(VALU_DEP_4) | instskip(NEXT) | instid1(VALU_DEP_3)
	v_xor_b32_e32 v27, v24, v26
	v_add_co_u32 v23, vcc_lo, v19, v21
	s_delay_alu instid0(VALU_DEP_3) | instskip(SKIP_1) | instid1(VALU_DEP_3)
	v_add_co_ci_u32_e32 v28, vcc_lo, v20, v22, vcc_lo
	v_xor_b32_e32 v25, v25, v26
	v_mul_hi_u32 v29, v27, v23
	s_delay_alu instid0(VALU_DEP_3) | instskip(NEXT) | instid1(VALU_DEP_3)
	v_mad_u64_u32 v[19:20], null, v27, v28, 0
	v_mad_u64_u32 v[21:22], null, v25, v23, 0
	;; [unrolled: 1-line block ×3, first 2 shown]
	s_delay_alu instid0(VALU_DEP_3) | instskip(NEXT) | instid1(VALU_DEP_4)
	v_add_co_u32 v19, vcc_lo, v29, v19
	v_add_co_ci_u32_e32 v20, vcc_lo, 0, v20, vcc_lo
	s_delay_alu instid0(VALU_DEP_2) | instskip(NEXT) | instid1(VALU_DEP_2)
	v_add_co_u32 v19, vcc_lo, v19, v21
	v_add_co_ci_u32_e32 v19, vcc_lo, v20, v22, vcc_lo
	v_add_co_ci_u32_e32 v20, vcc_lo, 0, v24, vcc_lo
	s_delay_alu instid0(VALU_DEP_2) | instskip(NEXT) | instid1(VALU_DEP_2)
	v_add_co_u32 v21, vcc_lo, v19, v23
	v_add_co_ci_u32_e32 v22, vcc_lo, 0, v20, vcc_lo
	s_delay_alu instid0(VALU_DEP_2) | instskip(SKIP_1) | instid1(VALU_DEP_3)
	v_mul_lo_u32 v23, s5, v21
	v_mad_u64_u32 v[19:20], null, s4, v21, 0
	v_mul_lo_u32 v24, s4, v22
	s_delay_alu instid0(VALU_DEP_2) | instskip(NEXT) | instid1(VALU_DEP_2)
	v_sub_co_u32 v19, vcc_lo, v27, v19
	v_add3_u32 v20, v20, v24, v23
	s_delay_alu instid0(VALU_DEP_1) | instskip(NEXT) | instid1(VALU_DEP_1)
	v_sub_nc_u32_e32 v23, v25, v20
	v_subrev_co_ci_u32_e64 v23, s1, s5, v23, vcc_lo
	v_add_co_u32 v24, s1, v21, 2
	s_delay_alu instid0(VALU_DEP_1) | instskip(SKIP_3) | instid1(VALU_DEP_3)
	v_add_co_ci_u32_e64 v27, s1, 0, v22, s1
	v_sub_co_u32 v28, s1, v19, s4
	v_sub_co_ci_u32_e32 v20, vcc_lo, v25, v20, vcc_lo
	v_subrev_co_ci_u32_e64 v23, s1, 0, v23, s1
	v_cmp_le_u32_e32 vcc_lo, s4, v28
	s_delay_alu instid0(VALU_DEP_3) | instskip(SKIP_1) | instid1(VALU_DEP_4)
	v_cmp_eq_u32_e64 s1, s5, v20
	v_cndmask_b32_e64 v25, 0, -1, vcc_lo
	v_cmp_le_u32_e32 vcc_lo, s5, v23
	v_cndmask_b32_e64 v28, 0, -1, vcc_lo
	v_cmp_le_u32_e32 vcc_lo, s4, v19
	;; [unrolled: 2-line block ×3, first 2 shown]
	v_cndmask_b32_e64 v29, 0, -1, vcc_lo
	v_cmp_eq_u32_e32 vcc_lo, s5, v23
	s_delay_alu instid0(VALU_DEP_2) | instskip(SKIP_3) | instid1(VALU_DEP_3)
	v_cndmask_b32_e64 v19, v29, v19, s1
	v_cndmask_b32_e32 v23, v28, v25, vcc_lo
	v_add_co_u32 v25, vcc_lo, v21, 1
	v_add_co_ci_u32_e32 v28, vcc_lo, 0, v22, vcc_lo
	v_cmp_ne_u32_e32 vcc_lo, 0, v23
	s_delay_alu instid0(VALU_DEP_2) | instskip(SKIP_2) | instid1(VALU_DEP_3)
	v_dual_cndmask_b32 v20, v28, v27 :: v_dual_cndmask_b32 v23, v25, v24
	v_cmp_ne_u32_e32 vcc_lo, 0, v19
	v_xor_b32_e32 v19, s2, v26
	v_dual_cndmask_b32 v21, v21, v23 :: v_dual_cndmask_b32 v20, v22, v20
	v_xor_b32_e32 v22, s3, v26
	s_delay_alu instid0(VALU_DEP_2) | instskip(NEXT) | instid1(VALU_DEP_2)
	v_xor_b32_e32 v21, v21, v19
	v_xor_b32_e32 v20, v20, v22
	s_delay_alu instid0(VALU_DEP_2) | instskip(NEXT) | instid1(VALU_DEP_2)
	v_sub_co_u32 v19, vcc_lo, v21, v19
	v_sub_co_ci_u32_e32 v20, vcc_lo, v20, v22, vcc_lo
.LBB8_18:
	s_and_not1_saveexec_b32 s1, s14
	s_cbranch_execz .LBB8_20
; %bb.19:
	v_cvt_f32_u32_e32 v19, s8
	s_sub_i32 s2, 0, s8
	s_delay_alu instid0(VALU_DEP_1) | instskip(SKIP_2) | instid1(VALU_DEP_1)
	v_rcp_iflag_f32_e32 v19, v19
	s_waitcnt_depctr 0xfff
	v_mul_f32_e32 v19, 0x4f7ffffe, v19
	v_cvt_u32_f32_e32 v19, v19
	s_delay_alu instid0(VALU_DEP_1) | instskip(NEXT) | instid1(VALU_DEP_1)
	v_mul_lo_u32 v20, s2, v19
	v_mul_hi_u32 v20, v19, v20
	s_delay_alu instid0(VALU_DEP_1) | instskip(NEXT) | instid1(VALU_DEP_1)
	v_add_nc_u32_e32 v19, v19, v20
	v_mul_hi_u32 v19, v17, v19
	s_delay_alu instid0(VALU_DEP_1) | instskip(SKIP_1) | instid1(VALU_DEP_2)
	v_mul_lo_u32 v20, v19, s8
	v_add_nc_u32_e32 v21, 1, v19
	v_sub_nc_u32_e32 v20, v17, v20
	s_delay_alu instid0(VALU_DEP_1) | instskip(SKIP_1) | instid1(VALU_DEP_2)
	v_subrev_nc_u32_e32 v22, s8, v20
	v_cmp_le_u32_e32 vcc_lo, s8, v20
	v_dual_cndmask_b32 v20, v20, v22 :: v_dual_cndmask_b32 v19, v19, v21
	s_delay_alu instid0(VALU_DEP_1) | instskip(NEXT) | instid1(VALU_DEP_2)
	v_cmp_le_u32_e32 vcc_lo, s8, v20
	v_dual_mov_b32 v20, 0 :: v_dual_add_nc_u32 v21, 1, v19
	s_delay_alu instid0(VALU_DEP_1)
	v_cndmask_b32_e32 v19, v19, v21, vcc_lo
.LBB8_20:
	s_or_b32 exec_lo, exec_lo, s1
	v_and_b32_e32 v21, 0x7f800000, v1
	s_mov_b32 s1, exec_lo
                                        ; implicit-def: $vgpr34
	s_delay_alu instid0(VALU_DEP_1)
	v_cmpx_ne_u32_e32 0x7f800000, v21
	s_xor_b32 s1, exec_lo, s1
; %bb.21:
	v_bfe_u32 v21, v1, 16, 1
	s_delay_alu instid0(VALU_DEP_1)
	v_add3_u32 v34, v1, v21, 0x7fff
; %bb.22:
	s_and_not1_saveexec_b32 s1, s1
; %bb.23:
	v_and_b32_e32 v21, 0xffff, v1
	v_or_b32_e32 v22, 0x10000, v1
	s_delay_alu instid0(VALU_DEP_2) | instskip(NEXT) | instid1(VALU_DEP_2)
	v_cmp_eq_u32_e32 vcc_lo, 0, v21
	v_cndmask_b32_e32 v34, v22, v1, vcc_lo
; %bb.24:
	s_or_b32 exec_lo, exec_lo, s1
	v_and_b32_e32 v1, 0x7f800000, v2
	s_delay_alu instid0(VALU_DEP_2) | instskip(SKIP_1) | instid1(VALU_DEP_2)
	v_and_b32_e32 v36, 0xffff0000, v34
	s_mov_b32 s1, exec_lo
                                        ; implicit-def: $vgpr35
	v_cmpx_ne_u32_e32 0x7f800000, v1
	s_xor_b32 s1, exec_lo, s1
; %bb.25:
	v_bfe_u32 v1, v2, 16, 1
	s_delay_alu instid0(VALU_DEP_1)
	v_add3_u32 v35, v2, v1, 0x7fff
; %bb.26:
	s_and_not1_saveexec_b32 s1, s1
; %bb.27:
	v_and_b32_e32 v1, 0xffff, v2
	v_or_b32_e32 v21, 0x10000, v2
	s_delay_alu instid0(VALU_DEP_2) | instskip(NEXT) | instid1(VALU_DEP_2)
	v_cmp_eq_u32_e32 vcc_lo, 0, v1
	v_cndmask_b32_e32 v35, v21, v2, vcc_lo
; %bb.28:
	s_or_b32 exec_lo, exec_lo, s1
	v_and_b32_e32 v1, 0x7f800000, v3
	s_delay_alu instid0(VALU_DEP_2) | instskip(SKIP_1) | instid1(VALU_DEP_2)
	v_and_b32_e32 v33, 0xffff0000, v35
	s_mov_b32 s1, exec_lo
                                        ; implicit-def: $vgpr39
	v_cmpx_ne_u32_e32 0x7f800000, v1
	s_xor_b32 s1, exec_lo, s1
; %bb.29:
	v_bfe_u32 v1, v3, 16, 1
	s_delay_alu instid0(VALU_DEP_1)
	v_add3_u32 v39, v3, v1, 0x7fff
; %bb.30:
	s_and_not1_saveexec_b32 s1, s1
; %bb.31:
	v_and_b32_e32 v1, 0xffff, v3
	v_or_b32_e32 v2, 0x10000, v3
	s_delay_alu instid0(VALU_DEP_2) | instskip(NEXT) | instid1(VALU_DEP_2)
	v_cmp_eq_u32_e32 vcc_lo, 0, v1
	v_cndmask_b32_e32 v39, v2, v3, vcc_lo
; %bb.32:
	s_or_b32 exec_lo, exec_lo, s1
	v_and_b32_e32 v1, 0x7f800000, v4
	s_delay_alu instid0(VALU_DEP_2) | instskip(SKIP_1) | instid1(VALU_DEP_2)
	v_and_b32_e32 v32, 0xffff0000, v39
	s_mov_b32 s1, exec_lo
                                        ; implicit-def: $vgpr40
	v_cmpx_ne_u32_e32 0x7f800000, v1
	s_xor_b32 s1, exec_lo, s1
; %bb.33:
	v_bfe_u32 v1, v4, 16, 1
	s_delay_alu instid0(VALU_DEP_1)
	v_add3_u32 v40, v4, v1, 0x7fff
; %bb.34:
	s_and_not1_saveexec_b32 s1, s1
; %bb.35:
	v_and_b32_e32 v1, 0xffff, v4
	v_or_b32_e32 v2, 0x10000, v4
	s_delay_alu instid0(VALU_DEP_2) | instskip(NEXT) | instid1(VALU_DEP_2)
	v_cmp_eq_u32_e32 vcc_lo, 0, v1
	v_cndmask_b32_e32 v40, v2, v4, vcc_lo
; %bb.36:
	s_or_b32 exec_lo, exec_lo, s1
	v_and_b32_e32 v1, 0x7f800000, v5
	s_delay_alu instid0(VALU_DEP_2) | instskip(SKIP_1) | instid1(VALU_DEP_2)
	v_and_b32_e32 v31, 0xffff0000, v40
	s_mov_b32 s1, exec_lo
                                        ; implicit-def: $vgpr41
	v_cmpx_ne_u32_e32 0x7f800000, v1
	s_xor_b32 s1, exec_lo, s1
; %bb.37:
	v_bfe_u32 v1, v5, 16, 1
	s_delay_alu instid0(VALU_DEP_1)
	v_add3_u32 v41, v5, v1, 0x7fff
; %bb.38:
	s_and_not1_saveexec_b32 s1, s1
; %bb.39:
	v_and_b32_e32 v1, 0xffff, v5
	v_or_b32_e32 v2, 0x10000, v5
	s_delay_alu instid0(VALU_DEP_2) | instskip(NEXT) | instid1(VALU_DEP_2)
	v_cmp_eq_u32_e32 vcc_lo, 0, v1
	v_cndmask_b32_e32 v41, v2, v5, vcc_lo
; %bb.40:
	s_or_b32 exec_lo, exec_lo, s1
	v_and_b32_e32 v1, 0x7f800000, v6
	s_delay_alu instid0(VALU_DEP_2) | instskip(SKIP_1) | instid1(VALU_DEP_2)
	v_and_b32_e32 v30, 0xffff0000, v41
	s_mov_b32 s1, exec_lo
                                        ; implicit-def: $vgpr42
	v_cmpx_ne_u32_e32 0x7f800000, v1
	s_xor_b32 s1, exec_lo, s1
; %bb.41:
	v_bfe_u32 v1, v6, 16, 1
	s_delay_alu instid0(VALU_DEP_1)
	v_add3_u32 v42, v6, v1, 0x7fff
; %bb.42:
	s_and_not1_saveexec_b32 s1, s1
; %bb.43:
	v_and_b32_e32 v1, 0xffff, v6
	v_or_b32_e32 v2, 0x10000, v6
	s_delay_alu instid0(VALU_DEP_2) | instskip(NEXT) | instid1(VALU_DEP_2)
	v_cmp_eq_u32_e32 vcc_lo, 0, v1
	v_cndmask_b32_e32 v42, v2, v6, vcc_lo
; %bb.44:
	s_or_b32 exec_lo, exec_lo, s1
	v_and_b32_e32 v1, 0x7f800000, v7
	s_delay_alu instid0(VALU_DEP_2) | instskip(SKIP_1) | instid1(VALU_DEP_2)
	v_and_b32_e32 v29, 0xffff0000, v42
	s_mov_b32 s1, exec_lo
                                        ; implicit-def: $vgpr43
	v_cmpx_ne_u32_e32 0x7f800000, v1
	s_xor_b32 s1, exec_lo, s1
; %bb.45:
	v_bfe_u32 v1, v7, 16, 1
	s_delay_alu instid0(VALU_DEP_1)
	v_add3_u32 v43, v7, v1, 0x7fff
; %bb.46:
	s_and_not1_saveexec_b32 s1, s1
; %bb.47:
	v_and_b32_e32 v1, 0xffff, v7
	v_or_b32_e32 v2, 0x10000, v7
	s_delay_alu instid0(VALU_DEP_2) | instskip(NEXT) | instid1(VALU_DEP_2)
	v_cmp_eq_u32_e32 vcc_lo, 0, v1
	v_cndmask_b32_e32 v43, v2, v7, vcc_lo
; %bb.48:
	s_or_b32 exec_lo, exec_lo, s1
	v_and_b32_e32 v1, 0x7f800000, v8
	s_delay_alu instid0(VALU_DEP_2) | instskip(SKIP_1) | instid1(VALU_DEP_2)
	v_and_b32_e32 v26, 0xffff0000, v43
	s_mov_b32 s1, exec_lo
                                        ; implicit-def: $vgpr44
	v_cmpx_ne_u32_e32 0x7f800000, v1
	s_xor_b32 s1, exec_lo, s1
; %bb.49:
	v_bfe_u32 v1, v8, 16, 1
	s_delay_alu instid0(VALU_DEP_1)
	v_add3_u32 v44, v8, v1, 0x7fff
; %bb.50:
	s_and_not1_saveexec_b32 s1, s1
; %bb.51:
	v_and_b32_e32 v1, 0xffff, v8
	v_or_b32_e32 v2, 0x10000, v8
	s_delay_alu instid0(VALU_DEP_2) | instskip(NEXT) | instid1(VALU_DEP_2)
	v_cmp_eq_u32_e32 vcc_lo, 0, v1
	v_cndmask_b32_e32 v44, v2, v8, vcc_lo
; %bb.52:
	s_or_b32 exec_lo, exec_lo, s1
	v_and_b32_e32 v1, 0x7f800000, v9
	s_delay_alu instid0(VALU_DEP_2) | instskip(SKIP_1) | instid1(VALU_DEP_2)
	v_and_b32_e32 v28, 0xffff0000, v44
	s_mov_b32 s1, exec_lo
                                        ; implicit-def: $vgpr45
	v_cmpx_ne_u32_e32 0x7f800000, v1
	s_xor_b32 s1, exec_lo, s1
; %bb.53:
	v_bfe_u32 v1, v9, 16, 1
	s_delay_alu instid0(VALU_DEP_1)
	v_add3_u32 v45, v9, v1, 0x7fff
; %bb.54:
	s_and_not1_saveexec_b32 s1, s1
; %bb.55:
	v_and_b32_e32 v1, 0xffff, v9
	v_or_b32_e32 v2, 0x10000, v9
	s_delay_alu instid0(VALU_DEP_2) | instskip(NEXT) | instid1(VALU_DEP_2)
	v_cmp_eq_u32_e32 vcc_lo, 0, v1
	v_cndmask_b32_e32 v45, v2, v9, vcc_lo
; %bb.56:
	s_or_b32 exec_lo, exec_lo, s1
	v_and_b32_e32 v1, 0x7f800000, v10
	s_delay_alu instid0(VALU_DEP_2) | instskip(SKIP_1) | instid1(VALU_DEP_2)
	v_and_b32_e32 v27, 0xffff0000, v45
	s_mov_b32 s1, exec_lo
                                        ; implicit-def: $vgpr46
	v_cmpx_ne_u32_e32 0x7f800000, v1
	s_xor_b32 s1, exec_lo, s1
; %bb.57:
	v_bfe_u32 v1, v10, 16, 1
	s_delay_alu instid0(VALU_DEP_1)
	v_add3_u32 v46, v10, v1, 0x7fff
; %bb.58:
	s_and_not1_saveexec_b32 s1, s1
; %bb.59:
	v_and_b32_e32 v1, 0xffff, v10
	v_or_b32_e32 v2, 0x10000, v10
	s_delay_alu instid0(VALU_DEP_2) | instskip(NEXT) | instid1(VALU_DEP_2)
	v_cmp_eq_u32_e32 vcc_lo, 0, v1
	v_cndmask_b32_e32 v46, v2, v10, vcc_lo
; %bb.60:
	s_or_b32 exec_lo, exec_lo, s1
	v_and_b32_e32 v1, 0x7f800000, v11
	s_delay_alu instid0(VALU_DEP_2) | instskip(SKIP_1) | instid1(VALU_DEP_2)
	v_and_b32_e32 v25, 0xffff0000, v46
	s_mov_b32 s1, exec_lo
                                        ; implicit-def: $vgpr47
	v_cmpx_ne_u32_e32 0x7f800000, v1
	s_xor_b32 s1, exec_lo, s1
; %bb.61:
	v_bfe_u32 v1, v11, 16, 1
	s_delay_alu instid0(VALU_DEP_1)
	v_add3_u32 v47, v11, v1, 0x7fff
; %bb.62:
	s_and_not1_saveexec_b32 s1, s1
; %bb.63:
	v_and_b32_e32 v1, 0xffff, v11
	v_or_b32_e32 v2, 0x10000, v11
	s_delay_alu instid0(VALU_DEP_2) | instskip(NEXT) | instid1(VALU_DEP_2)
	v_cmp_eq_u32_e32 vcc_lo, 0, v1
	v_cndmask_b32_e32 v47, v2, v11, vcc_lo
; %bb.64:
	s_or_b32 exec_lo, exec_lo, s1
	v_and_b32_e32 v1, 0x7f800000, v12
	s_delay_alu instid0(VALU_DEP_2) | instskip(SKIP_1) | instid1(VALU_DEP_2)
	v_and_b32_e32 v24, 0xffff0000, v47
	s_mov_b32 s1, exec_lo
                                        ; implicit-def: $vgpr48
	v_cmpx_ne_u32_e32 0x7f800000, v1
	s_xor_b32 s1, exec_lo, s1
; %bb.65:
	v_bfe_u32 v1, v12, 16, 1
	s_delay_alu instid0(VALU_DEP_1)
	v_add3_u32 v48, v12, v1, 0x7fff
; %bb.66:
	s_and_not1_saveexec_b32 s1, s1
; %bb.67:
	v_and_b32_e32 v1, 0xffff, v12
	v_or_b32_e32 v2, 0x10000, v12
	s_delay_alu instid0(VALU_DEP_2) | instskip(NEXT) | instid1(VALU_DEP_2)
	v_cmp_eq_u32_e32 vcc_lo, 0, v1
	v_cndmask_b32_e32 v48, v2, v12, vcc_lo
; %bb.68:
	s_or_b32 exec_lo, exec_lo, s1
	v_and_b32_e32 v1, 0x7f800000, v13
	s_delay_alu instid0(VALU_DEP_2) | instskip(SKIP_1) | instid1(VALU_DEP_2)
	v_and_b32_e32 v23, 0xffff0000, v48
	s_mov_b32 s1, exec_lo
                                        ; implicit-def: $vgpr49
	v_cmpx_ne_u32_e32 0x7f800000, v1
	s_xor_b32 s1, exec_lo, s1
; %bb.69:
	v_bfe_u32 v1, v13, 16, 1
	s_delay_alu instid0(VALU_DEP_1)
	v_add3_u32 v49, v13, v1, 0x7fff
; %bb.70:
	s_and_not1_saveexec_b32 s1, s1
; %bb.71:
	v_and_b32_e32 v1, 0xffff, v13
	v_or_b32_e32 v2, 0x10000, v13
	s_delay_alu instid0(VALU_DEP_2) | instskip(NEXT) | instid1(VALU_DEP_2)
	v_cmp_eq_u32_e32 vcc_lo, 0, v1
	v_cndmask_b32_e32 v49, v2, v13, vcc_lo
; %bb.72:
	s_or_b32 exec_lo, exec_lo, s1
	v_and_b32_e32 v1, 0x7f800000, v14
	s_mov_b32 s1, exec_lo
                                        ; implicit-def: $vgpr50
	s_delay_alu instid0(VALU_DEP_1)
	v_cmpx_ne_u32_e32 0x7f800000, v1
	s_xor_b32 s1, exec_lo, s1
; %bb.73:
	v_bfe_u32 v1, v14, 16, 1
	s_delay_alu instid0(VALU_DEP_1)
	v_add3_u32 v50, v14, v1, 0x7fff
; %bb.74:
	s_and_not1_saveexec_b32 s1, s1
; %bb.75:
	v_and_b32_e32 v1, 0xffff, v14
	v_or_b32_e32 v2, 0x10000, v14
	s_delay_alu instid0(VALU_DEP_2) | instskip(NEXT) | instid1(VALU_DEP_2)
	v_cmp_eq_u32_e32 vcc_lo, 0, v1
	v_cndmask_b32_e32 v50, v2, v14, vcc_lo
; %bb.76:
	s_or_b32 exec_lo, exec_lo, s1
	v_and_b32_e32 v1, 0x7f800000, v15
	s_mov_b32 s1, exec_lo
                                        ; implicit-def: $vgpr51
	s_delay_alu instid0(VALU_DEP_1)
	v_cmpx_ne_u32_e32 0x7f800000, v1
	s_xor_b32 s1, exec_lo, s1
; %bb.77:
	v_bfe_u32 v1, v15, 16, 1
	s_delay_alu instid0(VALU_DEP_1)
	v_add3_u32 v51, v15, v1, 0x7fff
; %bb.78:
	s_and_not1_saveexec_b32 s1, s1
; %bb.79:
	v_and_b32_e32 v1, 0xffff, v15
	v_or_b32_e32 v2, 0x10000, v15
	s_delay_alu instid0(VALU_DEP_2) | instskip(NEXT) | instid1(VALU_DEP_2)
	v_cmp_eq_u32_e32 vcc_lo, 0, v1
	v_cndmask_b32_e32 v51, v2, v15, vcc_lo
; %bb.80:
	s_or_b32 exec_lo, exec_lo, s1
	v_and_b32_e32 v1, 0x7f800000, v16
	s_mov_b32 s1, exec_lo
                                        ; implicit-def: $vgpr52
	s_delay_alu instid0(VALU_DEP_1)
	v_cmpx_ne_u32_e32 0x7f800000, v1
	s_xor_b32 s1, exec_lo, s1
; %bb.81:
	v_bfe_u32 v1, v16, 16, 1
	s_delay_alu instid0(VALU_DEP_1)
	v_add3_u32 v52, v16, v1, 0x7fff
                                        ; implicit-def: $vgpr1_vgpr2_vgpr3_vgpr4_vgpr5_vgpr6_vgpr7_vgpr8_vgpr9_vgpr10_vgpr11_vgpr12_vgpr13_vgpr14_vgpr15_vgpr16
; %bb.82:
	s_and_not1_saveexec_b32 s1, s1
; %bb.83:
	v_and_b32_e32 v1, 0xffff, v16
	v_or_b32_e32 v2, 0x10000, v16
	s_delay_alu instid0(VALU_DEP_2) | instskip(NEXT) | instid1(VALU_DEP_2)
	v_cmp_eq_u32_e32 vcc_lo, 0, v1
	v_cndmask_b32_e32 v52, v2, v16, vcc_lo
; %bb.84:
	s_or_b32 exec_lo, exec_lo, s1
	v_max3_f32 v1, |v36|, 0, |v33|
	v_mbcnt_lo_u32_b32 v5, -1, 0
	v_and_b32_e32 v22, 0xffff0000, v49
	v_and_b32_e32 v16, 0xffff0000, v51
	v_mul_lo_u32 v6, v20, s8
	v_max3_f32 v1, v1, |v32|, |v31|
	v_xor_b32_e32 v2, 1, v5
	v_xor_b32_e32 v12, 2, v5
	v_mul_lo_u32 v8, v19, s16
	s_ashr_i32 s1, s15, 31
	v_max3_f32 v1, v1, |v30|, |v29|
	v_cmp_gt_i32_e32 vcc_lo, 32, v2
	v_and_b32_e32 v13, 0xffff0000, v52
	v_mad_u64_u32 v[3:4], null, v19, s15, s[10:11]
	s_delay_alu instid0(VALU_DEP_4)
	v_max3_f32 v1, v1, |v26|, |v28|
	v_cndmask_b32_e32 v2, v5, v2, vcc_lo
	v_cmp_gt_i32_e32 vcc_lo, 32, v12
	v_and_b32_e32 v21, 0xffff0000, v50
	v_mul_lo_u32 v10, v20, s15
	v_max3_f32 v1, v1, |v27|, |v25|
	v_mul_lo_u32 v11, v19, s1
	s_delay_alu instid0(VALU_DEP_2) | instskip(NEXT) | instid1(VALU_DEP_2)
	v_max3_f32 v1, v1, |v24|, |v23|
	v_add3_u32 v4, v10, v4, v11
	s_delay_alu instid0(VALU_DEP_2) | instskip(NEXT) | instid1(VALU_DEP_1)
	v_max3_f32 v1, v1, |v22|, |v21|
	v_max3_f32 v7, v1, |v16|, |v13|
	v_lshlrev_b32_e32 v2, 2, v2
	ds_bpermute_b32 v9, v2, v7
	v_mad_u64_u32 v[1:2], null, v19, s8, 0
	s_delay_alu instid0(VALU_DEP_1) | instskip(SKIP_1) | instid1(VALU_DEP_3)
	v_add3_u32 v2, v2, v8, v6
	v_cndmask_b32_e32 v8, v5, v12, vcc_lo
	v_sub_co_u32 v5, vcc_lo, v17, v1
	s_delay_alu instid0(VALU_DEP_3) | instskip(NEXT) | instid1(VALU_DEP_3)
	v_sub_co_ci_u32_e32 v6, vcc_lo, v18, v2, vcc_lo
	v_lshlrev_b32_e32 v8, 2, v8
	s_delay_alu instid0(VALU_DEP_3) | instskip(SKIP_2) | instid1(VALU_DEP_1)
	v_mad_u64_u32 v[1:2], null, 0x240, v5, v[3:4]
	s_waitcnt lgkmcnt(0)
	v_max_f32_e32 v9, v9, v9
	v_max_f32_e32 v7, v7, v9
	s_delay_alu instid0(VALU_DEP_3) | instskip(SKIP_3) | instid1(SALU_CYCLE_1)
	v_mad_u64_u32 v[9:10], null, 0x240, v6, v[2:3]
	ds_bpermute_b32 v8, v8, v7
	v_mov_b32_e32 v2, v9
	s_and_saveexec_b32 s1, s0
	s_xor_b32 s1, exec_lo, s1
	s_cbranch_execz .LBB8_378
; %bb.85:
	s_waitcnt lgkmcnt(0)
	v_max3_f32 v7, v7, v8, 0x38d1b717
	s_mov_b32 s0, 0xc3e00000
	s_delay_alu instid0(VALU_DEP_1) | instskip(SKIP_1) | instid1(VALU_DEP_2)
	v_div_scale_f32 v8, null, 0x43e00000, 0x43e00000, v7
	v_div_scale_f32 v11, vcc_lo, v7, 0x43e00000, v7
	v_rcp_f32_e32 v9, v8
	s_waitcnt_depctr 0xfff
	v_fma_f32 v10, -v8, v9, 1.0
	s_delay_alu instid0(VALU_DEP_1) | instskip(NEXT) | instid1(VALU_DEP_1)
	v_fmac_f32_e32 v9, v10, v9
	v_mul_f32_e32 v10, v11, v9
	s_delay_alu instid0(VALU_DEP_1) | instskip(NEXT) | instid1(VALU_DEP_1)
	v_fma_f32 v12, -v8, v10, v11
	v_fmac_f32_e32 v10, v12, v9
	s_delay_alu instid0(VALU_DEP_1) | instskip(NEXT) | instid1(VALU_DEP_1)
	v_fma_f32 v8, -v8, v10, v11
	v_div_fmas_f32 v8, v8, v9, v10
	s_delay_alu instid0(VALU_DEP_1) | instskip(NEXT) | instid1(VALU_DEP_1)
	v_div_fixup_f32 v7, v8, 0x43e00000, v7
	v_cmp_gt_f32_e32 vcc_lo, 0x800000, v7
	v_cndmask_b32_e64 v8, 1.0, 0x4f800000, vcc_lo
	s_delay_alu instid0(VALU_DEP_1) | instskip(SKIP_1) | instid1(VALU_DEP_2)
	v_mul_f32_e32 v7, v7, v8
	v_cndmask_b32_e64 v8, 0, 0x42000000, vcc_lo
	v_log_f32_e32 v7, v7
	s_waitcnt_depctr 0xfff
	v_sub_f32_e32 v7, v7, v8
	s_delay_alu instid0(VALU_DEP_1) | instskip(NEXT) | instid1(VALU_DEP_1)
	v_ceil_f32_e32 v11, v7
	v_cmp_lt_f32_e32 vcc_lo, 0x42fc0000, v11
	v_cndmask_b32_e64 v7, 0, 0x42800000, vcc_lo
	v_cndmask_b32_e64 v8, 1.0, 0x1f800000, vcc_lo
	s_delay_alu instid0(VALU_DEP_2) | instskip(NEXT) | instid1(VALU_DEP_1)
	v_sub_f32_e32 v7, v7, v11
	v_exp_f32_e32 v7, v7
	s_waitcnt_depctr 0xfff
	v_mul_f32_e32 v14, v7, v8
	s_delay_alu instid0(VALU_DEP_1) | instskip(NEXT) | instid1(VALU_DEP_1)
	v_dual_mov_b32 v8, 0 :: v_dual_mul_f32 v7, v14, v36
	v_mov_b32_e32 v18, v8
	s_delay_alu instid0(VALU_DEP_2) | instskip(SKIP_1) | instid1(VALU_DEP_1)
	v_maxmin_f32 v9, v7, s0, 0x43e00000
	s_mov_b32 s0, exec_lo
	v_lshrrev_b32_e32 v10, 24, v9
	v_and_b32_e32 v17, 0x7f800000, v9
	v_and_b32_e32 v7, 0x7fffff, v9
	s_delay_alu instid0(VALU_DEP_3) | instskip(NEXT) | instid1(VALU_DEP_1)
	v_and_b32_e32 v15, 0x80, v10
	v_or_b32_e32 v12, 0x7e, v15
	s_delay_alu instid0(VALU_DEP_4)
	v_cmpx_ne_u64_e32 0x7f800000, v[17:18]
	s_xor_b32 s2, exec_lo, s0
	s_cbranch_execz .LBB8_101
; %bb.86:
	v_dual_mov_b32 v18, v8 :: v_dual_and_b32 v17, 0x7fffffff, v9
	s_mov_b32 s0, exec_lo
	s_delay_alu instid0(VALU_DEP_1)
	v_cmpx_gt_u64_e32 0x43e00001, v[17:18]
	s_xor_b32 s3, exec_lo, s0
	s_cbranch_execz .LBB8_100
; %bb.87:
	v_mov_b32_e32 v12, 0
	s_mov_b32 s4, exec_lo
	v_cmpx_ne_u32_e32 0, v9
	s_cbranch_execz .LBB8_99
; %bb.88:
	v_bfe_u32 v12, v9, 23, 8
	v_or_b32_e32 v18, 0x800000, v7
	s_delay_alu instid0(VALU_DEP_2) | instskip(SKIP_1) | instid1(VALU_DEP_2)
	v_sub_nc_u32_e32 v9, 0x79, v12
	v_cmp_gt_u32_e32 vcc_lo, 0x7a, v12
	v_cndmask_b32_e32 v9, 0, v9, vcc_lo
	v_cmp_eq_u32_e32 vcc_lo, 0, v12
	s_delay_alu instid0(VALU_DEP_2) | instskip(NEXT) | instid1(VALU_DEP_1)
	v_cndmask_b32_e64 v17, v9, 0x78, vcc_lo
	v_dual_cndmask_b32 v7, v18, v7 :: v_dual_add_nc_u32 v18, 19, v17
	v_add_nc_u32_e32 v9, 20, v17
	s_delay_alu instid0(VALU_DEP_1) | instskip(NEXT) | instid1(VALU_DEP_1)
	v_lshlrev_b64 v[9:10], v9, -1
	v_not_b32_e32 v20, v9
	s_delay_alu instid0(VALU_DEP_2) | instskip(SKIP_1) | instid1(VALU_DEP_3)
	v_not_b32_e32 v19, v10
	v_lshlrev_b64 v[9:10], v18, 1
	v_and_b32_e32 v18, v7, v20
	v_lshrrev_b64 v[7:8], v17, v[7:8]
	s_delay_alu instid0(VALU_DEP_4) | instskip(NEXT) | instid1(VALU_DEP_1)
	v_and_b32_e32 v19, 0, v19
	v_cmp_eq_u64_e64 s0, v[18:19], v[9:10]
	s_delay_alu instid0(VALU_DEP_3) | instskip(NEXT) | instid1(VALU_DEP_2)
	v_dual_mov_b32 v10, v8 :: v_dual_mov_b32 v9, v7
	s_and_saveexec_b32 s5, s0
; %bb.89:
	v_bfe_u32 v9, v7, 20, 1
	s_delay_alu instid0(VALU_DEP_1) | instskip(NEXT) | instid1(VALU_DEP_1)
	v_add_co_u32 v9, s0, v7, v9
	v_add_co_u32 v9, s0, v9, -1
; %bb.90:
	s_or_b32 exec_lo, exec_lo, s5
	v_add_nc_u32_e32 v10, 0xffffff81, v12
	v_lshrrev_b32_e32 v12, 23, v7
	s_delay_alu instid0(VALU_DEP_3) | instskip(SKIP_1) | instid1(VALU_DEP_3)
	v_and_b32_e32 v9, 0xfffff, v9
	s_mov_b32 s0, exec_lo
	v_cndmask_b32_e64 v10, v10, 0xffffff82, vcc_lo
	s_delay_alu instid0(VALU_DEP_2) | instskip(SKIP_1) | instid1(VALU_DEP_3)
	v_add_co_u32 v7, vcc_lo, v9, v7
	v_add_co_ci_u32_e32 v8, vcc_lo, 0, v8, vcc_lo
	v_add3_u32 v10, v17, v10, v12
                                        ; implicit-def: $vgpr9
	s_delay_alu instid0(VALU_DEP_1) | instskip(NEXT) | instid1(VALU_DEP_1)
	v_add_nc_u32_e32 v12, 6, v10
	v_cmpx_ne_u32_e32 0, v12
	s_xor_b32 s0, exec_lo, s0
; %bb.91:
	v_cmp_lt_u64_e32 vcc_lo, 0xffffff, v[7:8]
	v_add_nc_u32_e32 v9, 7, v10
	v_cndmask_b32_e64 v10, 0, 1, vcc_lo
	s_delay_alu instid0(VALU_DEP_2) | instskip(NEXT) | instid1(VALU_DEP_2)
	v_cndmask_b32_e32 v9, v12, v9, vcc_lo
	v_lshrrev_b64 v[7:8], v10, v[7:8]
; %bb.92:
	s_and_not1_saveexec_b32 s0, s0
; %bb.93:
	s_delay_alu instid0(VALU_DEP_1)
	v_bfe_u32 v9, v7, 23, 1
; %bb.94:
	s_or_b32 exec_lo, exec_lo, s0
	s_delay_alu instid0(VALU_DEP_2) | instskip(NEXT) | instid1(VALU_DEP_2)
	v_lshrrev_b64 v[7:8], 20, v[7:8]
	v_cmp_gt_i32_e32 vcc_lo, 16, v9
	v_cmp_ne_u32_e64 s0, 0, v9
                                        ; implicit-def: $vgpr12
	s_delay_alu instid0(VALU_DEP_3) | instskip(NEXT) | instid1(VALU_DEP_1)
	v_dual_cndmask_b32 v8, 0, v8 :: v_dual_cndmask_b32 v7, 7, v7
	v_cmp_ne_u64_e32 vcc_lo, 0, v[7:8]
	s_delay_alu instid0(VALU_DEP_3) | instskip(NEXT) | instid1(SALU_CYCLE_1)
	s_or_b32 s0, s0, vcc_lo
	s_and_saveexec_b32 s5, s0
	s_delay_alu instid0(SALU_CYCLE_1)
	s_xor_b32 s0, exec_lo, s5
; %bb.95:
	v_min_i32_e32 v8, 15, v9
	s_delay_alu instid0(VALU_DEP_1) | instskip(NEXT) | instid1(VALU_DEP_1)
	v_lshl_or_b32 v8, v8, 3, v15
                                        ; implicit-def: $vgpr15
	v_and_or_b32 v12, v7, 7, v8
; %bb.96:
	s_and_not1_saveexec_b32 s0, s0
; %bb.97:
	v_mov_b32_e32 v12, v15
; %bb.98:
	s_or_b32 exec_lo, exec_lo, s0
.LBB8_99:
	s_delay_alu instid0(SALU_CYCLE_1)
	s_or_b32 exec_lo, exec_lo, s4
.LBB8_100:
	s_and_not1_saveexec_b32 s0, s3
	s_delay_alu instid0(SALU_CYCLE_1)
	s_or_b32 exec_lo, exec_lo, s0
                                        ; implicit-def: $vgpr10
                                        ; implicit-def: $vgpr7_vgpr8
.LBB8_101:
	s_and_not1_saveexec_b32 s0, s2
; %bb.102:
	v_cmp_eq_u64_e32 vcc_lo, 0, v[7:8]
	v_or_b32_e32 v9, 0x7f, v10
	s_delay_alu instid0(VALU_DEP_1)
	v_cndmask_b32_e32 v12, v9, v12, vcc_lo
; %bb.103:
	s_or_b32 exec_lo, exec_lo, s0
	v_dual_mul_f32 v7, v14, v33 :: v_dual_mov_b32 v8, 0
	s_mov_b32 s0, 0xc3e00000
	s_delay_alu instid0(VALU_DEP_1) | instid1(SALU_CYCLE_1)
	v_maxmin_f32 v9, v7, s0, 0x43e00000
	s_mov_b32 s0, exec_lo
	s_delay_alu instid0(VALU_DEP_2) | instskip(NEXT) | instid1(VALU_DEP_2)
	v_mov_b32_e32 v19, v8
	v_lshrrev_b32_e32 v10, 24, v9
	v_and_b32_e32 v18, 0x7f800000, v9
	v_and_b32_e32 v7, 0x7fffff, v9
	s_delay_alu instid0(VALU_DEP_3) | instskip(NEXT) | instid1(VALU_DEP_1)
	v_and_b32_e32 v17, 0x80, v10
	v_or_b32_e32 v15, 0x7e, v17
	s_delay_alu instid0(VALU_DEP_4)
	v_cmpx_ne_u64_e32 0x7f800000, v[18:19]
	s_xor_b32 s2, exec_lo, s0
	s_cbranch_execz .LBB8_119
; %bb.104:
	v_dual_mov_b32 v19, v8 :: v_dual_and_b32 v18, 0x7fffffff, v9
	s_mov_b32 s0, exec_lo
	s_delay_alu instid0(VALU_DEP_1)
	v_cmpx_gt_u64_e32 0x43e00001, v[18:19]
	s_xor_b32 s3, exec_lo, s0
	s_cbranch_execz .LBB8_118
; %bb.105:
	v_mov_b32_e32 v15, 0
	s_mov_b32 s4, exec_lo
	v_cmpx_ne_u32_e32 0, v9
	s_cbranch_execz .LBB8_117
; %bb.106:
	v_bfe_u32 v15, v9, 23, 8
	v_or_b32_e32 v19, 0x800000, v7
	s_delay_alu instid0(VALU_DEP_2) | instskip(SKIP_1) | instid1(VALU_DEP_2)
	v_sub_nc_u32_e32 v9, 0x79, v15
	v_cmp_gt_u32_e32 vcc_lo, 0x7a, v15
	v_cndmask_b32_e32 v9, 0, v9, vcc_lo
	v_cmp_eq_u32_e32 vcc_lo, 0, v15
	s_delay_alu instid0(VALU_DEP_2) | instskip(SKIP_1) | instid1(VALU_DEP_2)
	v_cndmask_b32_e64 v18, v9, 0x78, vcc_lo
	v_cndmask_b32_e32 v7, v19, v7, vcc_lo
	v_add_nc_u32_e32 v9, 20, v18
	v_add_nc_u32_e32 v19, 19, v18
	s_delay_alu instid0(VALU_DEP_2) | instskip(NEXT) | instid1(VALU_DEP_1)
	v_lshlrev_b64 v[9:10], v9, -1
	v_not_b32_e32 v33, v9
	s_delay_alu instid0(VALU_DEP_2) | instskip(NEXT) | instid1(VALU_DEP_4)
	v_not_b32_e32 v20, v10
	v_lshlrev_b64 v[9:10], v19, 1
	s_delay_alu instid0(VALU_DEP_3) | instskip(SKIP_1) | instid1(VALU_DEP_4)
	v_and_b32_e32 v19, v7, v33
	v_lshrrev_b64 v[7:8], v18, v[7:8]
	v_and_b32_e32 v20, 0, v20
	s_delay_alu instid0(VALU_DEP_1) | instskip(NEXT) | instid1(VALU_DEP_3)
	v_cmp_eq_u64_e64 s0, v[19:20], v[9:10]
	v_dual_mov_b32 v10, v8 :: v_dual_mov_b32 v9, v7
	s_delay_alu instid0(VALU_DEP_2)
	s_and_saveexec_b32 s5, s0
; %bb.107:
	v_bfe_u32 v9, v7, 20, 1
	s_delay_alu instid0(VALU_DEP_1) | instskip(NEXT) | instid1(VALU_DEP_1)
	v_add_co_u32 v9, s0, v7, v9
	v_add_co_u32 v9, s0, v9, -1
; %bb.108:
	s_or_b32 exec_lo, exec_lo, s5
	v_add_nc_u32_e32 v10, 0xffffff81, v15
	v_lshrrev_b32_e32 v15, 23, v7
	s_delay_alu instid0(VALU_DEP_3) | instskip(SKIP_1) | instid1(VALU_DEP_3)
	v_and_b32_e32 v9, 0xfffff, v9
	s_mov_b32 s0, exec_lo
	v_cndmask_b32_e64 v10, v10, 0xffffff82, vcc_lo
	s_delay_alu instid0(VALU_DEP_2) | instskip(SKIP_1) | instid1(VALU_DEP_3)
	v_add_co_u32 v7, vcc_lo, v9, v7
	v_add_co_ci_u32_e32 v8, vcc_lo, 0, v8, vcc_lo
	v_add3_u32 v10, v18, v10, v15
                                        ; implicit-def: $vgpr9
	s_delay_alu instid0(VALU_DEP_1) | instskip(NEXT) | instid1(VALU_DEP_1)
	v_add_nc_u32_e32 v15, 6, v10
	v_cmpx_ne_u32_e32 0, v15
	s_xor_b32 s0, exec_lo, s0
; %bb.109:
	v_cmp_lt_u64_e32 vcc_lo, 0xffffff, v[7:8]
	v_add_nc_u32_e32 v9, 7, v10
	v_cndmask_b32_e64 v10, 0, 1, vcc_lo
	s_delay_alu instid0(VALU_DEP_2) | instskip(NEXT) | instid1(VALU_DEP_2)
	v_cndmask_b32_e32 v9, v15, v9, vcc_lo
	v_lshrrev_b64 v[7:8], v10, v[7:8]
; %bb.110:
	s_and_not1_saveexec_b32 s0, s0
; %bb.111:
	s_delay_alu instid0(VALU_DEP_1)
	v_bfe_u32 v9, v7, 23, 1
; %bb.112:
	s_or_b32 exec_lo, exec_lo, s0
	s_delay_alu instid0(VALU_DEP_2) | instskip(NEXT) | instid1(VALU_DEP_2)
	v_lshrrev_b64 v[7:8], 20, v[7:8]
	v_cmp_gt_i32_e32 vcc_lo, 16, v9
	v_cmp_ne_u32_e64 s0, 0, v9
                                        ; implicit-def: $vgpr15
	s_delay_alu instid0(VALU_DEP_3) | instskip(NEXT) | instid1(VALU_DEP_1)
	v_dual_cndmask_b32 v8, 0, v8 :: v_dual_cndmask_b32 v7, 7, v7
	v_cmp_ne_u64_e32 vcc_lo, 0, v[7:8]
	s_delay_alu instid0(VALU_DEP_3) | instskip(NEXT) | instid1(SALU_CYCLE_1)
	s_or_b32 s0, s0, vcc_lo
	s_and_saveexec_b32 s5, s0
	s_delay_alu instid0(SALU_CYCLE_1)
	s_xor_b32 s0, exec_lo, s5
; %bb.113:
	v_min_i32_e32 v8, 15, v9
	s_delay_alu instid0(VALU_DEP_1) | instskip(NEXT) | instid1(VALU_DEP_1)
	v_lshl_or_b32 v8, v8, 3, v17
                                        ; implicit-def: $vgpr17
	v_and_or_b32 v15, v7, 7, v8
; %bb.114:
	s_and_not1_saveexec_b32 s0, s0
; %bb.115:
	v_mov_b32_e32 v15, v17
; %bb.116:
	s_or_b32 exec_lo, exec_lo, s0
.LBB8_117:
	s_delay_alu instid0(SALU_CYCLE_1)
	s_or_b32 exec_lo, exec_lo, s4
.LBB8_118:
	s_and_not1_saveexec_b32 s0, s3
	s_delay_alu instid0(SALU_CYCLE_1)
	s_or_b32 exec_lo, exec_lo, s0
                                        ; implicit-def: $vgpr10
                                        ; implicit-def: $vgpr7_vgpr8
.LBB8_119:
	s_and_not1_saveexec_b32 s0, s2
; %bb.120:
	v_cmp_eq_u64_e32 vcc_lo, 0, v[7:8]
	v_or_b32_e32 v9, 0x7f, v10
	s_delay_alu instid0(VALU_DEP_1)
	v_cndmask_b32_e32 v15, v9, v15, vcc_lo
; %bb.121:
	s_or_b32 exec_lo, exec_lo, s0
	v_dual_mul_f32 v7, v14, v32 :: v_dual_mov_b32 v8, 0
	s_mov_b32 s0, 0xc3e00000
	s_delay_alu instid0(VALU_DEP_1) | instid1(SALU_CYCLE_1)
	v_maxmin_f32 v9, v7, s0, 0x43e00000
	s_mov_b32 s0, exec_lo
	s_delay_alu instid0(VALU_DEP_2) | instskip(NEXT) | instid1(VALU_DEP_2)
	v_mov_b32_e32 v20, v8
	v_lshrrev_b32_e32 v10, 24, v9
	v_and_b32_e32 v19, 0x7f800000, v9
	v_and_b32_e32 v7, 0x7fffff, v9
	s_delay_alu instid0(VALU_DEP_3) | instskip(NEXT) | instid1(VALU_DEP_1)
	v_and_b32_e32 v18, 0x80, v10
	v_or_b32_e32 v17, 0x7e, v18
	s_delay_alu instid0(VALU_DEP_4)
	v_cmpx_ne_u64_e32 0x7f800000, v[19:20]
	s_xor_b32 s2, exec_lo, s0
	s_cbranch_execz .LBB8_137
; %bb.122:
	v_dual_mov_b32 v20, v8 :: v_dual_and_b32 v19, 0x7fffffff, v9
	s_mov_b32 s0, exec_lo
	s_delay_alu instid0(VALU_DEP_1)
	v_cmpx_gt_u64_e32 0x43e00001, v[19:20]
	s_xor_b32 s3, exec_lo, s0
	s_cbranch_execz .LBB8_136
; %bb.123:
	v_mov_b32_e32 v17, 0
	s_mov_b32 s4, exec_lo
	v_cmpx_ne_u32_e32 0, v9
	s_cbranch_execz .LBB8_135
; %bb.124:
	v_bfe_u32 v17, v9, 23, 8
	v_or_b32_e32 v20, 0x800000, v7
	s_delay_alu instid0(VALU_DEP_2) | instskip(SKIP_1) | instid1(VALU_DEP_2)
	v_sub_nc_u32_e32 v9, 0x79, v17
	v_cmp_gt_u32_e32 vcc_lo, 0x7a, v17
	v_cndmask_b32_e32 v9, 0, v9, vcc_lo
	v_cmp_eq_u32_e32 vcc_lo, 0, v17
	s_delay_alu instid0(VALU_DEP_2) | instskip(SKIP_1) | instid1(VALU_DEP_2)
	v_cndmask_b32_e64 v19, v9, 0x78, vcc_lo
	v_cndmask_b32_e32 v7, v20, v7, vcc_lo
	v_add_nc_u32_e32 v20, 19, v19
	v_add_nc_u32_e32 v9, 20, v19
	s_delay_alu instid0(VALU_DEP_1) | instskip(NEXT) | instid1(VALU_DEP_1)
	v_lshlrev_b64 v[9:10], v9, -1
	v_not_b32_e32 v32, v10
	s_delay_alu instid0(VALU_DEP_2) | instskip(SKIP_1) | instid1(VALU_DEP_3)
	v_not_b32_e32 v34, v9
	v_lshlrev_b64 v[9:10], v20, 1
	v_and_b32_e32 v33, 0, v32
	s_delay_alu instid0(VALU_DEP_3) | instskip(SKIP_1) | instid1(VALU_DEP_2)
	v_and_b32_e32 v32, v7, v34
	v_lshrrev_b64 v[7:8], v19, v[7:8]
	v_cmp_eq_u64_e64 s0, v[32:33], v[9:10]
	s_delay_alu instid0(VALU_DEP_2) | instskip(NEXT) | instid1(VALU_DEP_2)
	v_dual_mov_b32 v10, v8 :: v_dual_mov_b32 v9, v7
	s_and_saveexec_b32 s5, s0
; %bb.125:
	v_bfe_u32 v9, v7, 20, 1
	s_delay_alu instid0(VALU_DEP_1) | instskip(NEXT) | instid1(VALU_DEP_1)
	v_add_co_u32 v9, s0, v7, v9
	v_add_co_u32 v9, s0, v9, -1
; %bb.126:
	s_or_b32 exec_lo, exec_lo, s5
	v_add_nc_u32_e32 v10, 0xffffff81, v17
	v_lshrrev_b32_e32 v17, 23, v7
	s_delay_alu instid0(VALU_DEP_3) | instskip(SKIP_1) | instid1(VALU_DEP_3)
	v_and_b32_e32 v9, 0xfffff, v9
	s_mov_b32 s0, exec_lo
	v_cndmask_b32_e64 v10, v10, 0xffffff82, vcc_lo
	s_delay_alu instid0(VALU_DEP_2) | instskip(SKIP_1) | instid1(VALU_DEP_3)
	v_add_co_u32 v7, vcc_lo, v9, v7
	v_add_co_ci_u32_e32 v8, vcc_lo, 0, v8, vcc_lo
	v_add3_u32 v10, v19, v10, v17
                                        ; implicit-def: $vgpr9
	s_delay_alu instid0(VALU_DEP_1) | instskip(NEXT) | instid1(VALU_DEP_1)
	v_add_nc_u32_e32 v17, 6, v10
	v_cmpx_ne_u32_e32 0, v17
	s_xor_b32 s0, exec_lo, s0
; %bb.127:
	v_cmp_lt_u64_e32 vcc_lo, 0xffffff, v[7:8]
	v_add_nc_u32_e32 v9, 7, v10
	v_cndmask_b32_e64 v10, 0, 1, vcc_lo
	s_delay_alu instid0(VALU_DEP_2) | instskip(NEXT) | instid1(VALU_DEP_2)
	v_cndmask_b32_e32 v9, v17, v9, vcc_lo
	v_lshrrev_b64 v[7:8], v10, v[7:8]
; %bb.128:
	s_and_not1_saveexec_b32 s0, s0
; %bb.129:
	s_delay_alu instid0(VALU_DEP_1)
	v_bfe_u32 v9, v7, 23, 1
; %bb.130:
	s_or_b32 exec_lo, exec_lo, s0
	s_delay_alu instid0(VALU_DEP_2) | instskip(NEXT) | instid1(VALU_DEP_2)
	v_lshrrev_b64 v[7:8], 20, v[7:8]
	v_cmp_gt_i32_e32 vcc_lo, 16, v9
	v_cmp_ne_u32_e64 s0, 0, v9
                                        ; implicit-def: $vgpr17
	s_delay_alu instid0(VALU_DEP_3) | instskip(NEXT) | instid1(VALU_DEP_1)
	v_dual_cndmask_b32 v8, 0, v8 :: v_dual_cndmask_b32 v7, 7, v7
	v_cmp_ne_u64_e32 vcc_lo, 0, v[7:8]
	s_delay_alu instid0(VALU_DEP_3) | instskip(NEXT) | instid1(SALU_CYCLE_1)
	s_or_b32 s0, s0, vcc_lo
	s_and_saveexec_b32 s5, s0
	s_delay_alu instid0(SALU_CYCLE_1)
	s_xor_b32 s0, exec_lo, s5
; %bb.131:
	v_min_i32_e32 v8, 15, v9
	s_delay_alu instid0(VALU_DEP_1) | instskip(NEXT) | instid1(VALU_DEP_1)
	v_lshl_or_b32 v8, v8, 3, v18
                                        ; implicit-def: $vgpr18
	v_and_or_b32 v17, v7, 7, v8
; %bb.132:
	s_and_not1_saveexec_b32 s0, s0
; %bb.133:
	v_mov_b32_e32 v17, v18
; %bb.134:
	s_or_b32 exec_lo, exec_lo, s0
.LBB8_135:
	s_delay_alu instid0(SALU_CYCLE_1)
	s_or_b32 exec_lo, exec_lo, s4
.LBB8_136:
	s_and_not1_saveexec_b32 s0, s3
	s_delay_alu instid0(SALU_CYCLE_1)
	s_or_b32 exec_lo, exec_lo, s0
                                        ; implicit-def: $vgpr10
                                        ; implicit-def: $vgpr7_vgpr8
.LBB8_137:
	s_and_not1_saveexec_b32 s0, s2
; %bb.138:
	v_cmp_eq_u64_e32 vcc_lo, 0, v[7:8]
	v_or_b32_e32 v9, 0x7f, v10
	s_delay_alu instid0(VALU_DEP_1)
	v_cndmask_b32_e32 v17, v9, v17, vcc_lo
; %bb.139:
	s_or_b32 exec_lo, exec_lo, s0
	v_dual_mul_f32 v7, v14, v31 :: v_dual_mov_b32 v8, 0
	s_mov_b32 s0, 0xc3e00000
	s_delay_alu instid0(VALU_DEP_1) | instid1(SALU_CYCLE_1)
	v_maxmin_f32 v9, v7, s0, 0x43e00000
	s_mov_b32 s0, exec_lo
	s_delay_alu instid0(VALU_DEP_2) | instskip(NEXT) | instid1(VALU_DEP_2)
	v_mov_b32_e32 v32, v8
	v_lshrrev_b32_e32 v10, 24, v9
	v_and_b32_e32 v31, 0x7f800000, v9
	v_and_b32_e32 v7, 0x7fffff, v9
	s_delay_alu instid0(VALU_DEP_3) | instskip(NEXT) | instid1(VALU_DEP_1)
	v_and_b32_e32 v19, 0x80, v10
	v_or_b32_e32 v18, 0x7e, v19
	s_delay_alu instid0(VALU_DEP_4)
	v_cmpx_ne_u64_e32 0x7f800000, v[31:32]
	s_xor_b32 s2, exec_lo, s0
	s_cbranch_execz .LBB8_155
; %bb.140:
	v_dual_mov_b32 v32, v8 :: v_dual_and_b32 v31, 0x7fffffff, v9
	s_mov_b32 s0, exec_lo
	s_delay_alu instid0(VALU_DEP_1)
	v_cmpx_gt_u64_e32 0x43e00001, v[31:32]
	s_xor_b32 s3, exec_lo, s0
	s_cbranch_execz .LBB8_154
; %bb.141:
	v_mov_b32_e32 v18, 0
	s_mov_b32 s4, exec_lo
	v_cmpx_ne_u32_e32 0, v9
	s_cbranch_execz .LBB8_153
; %bb.142:
	v_bfe_u32 v18, v9, 23, 8
	v_or_b32_e32 v31, 0x800000, v7
	s_delay_alu instid0(VALU_DEP_2) | instskip(SKIP_1) | instid1(VALU_DEP_2)
	v_sub_nc_u32_e32 v9, 0x79, v18
	v_cmp_gt_u32_e32 vcc_lo, 0x7a, v18
	v_cndmask_b32_e32 v9, 0, v9, vcc_lo
	v_cmp_eq_u32_e32 vcc_lo, 0, v18
	s_delay_alu instid0(VALU_DEP_2) | instskip(SKIP_1) | instid1(VALU_DEP_2)
	v_cndmask_b32_e64 v20, v9, 0x78, vcc_lo
	v_cndmask_b32_e32 v7, v31, v7, vcc_lo
	v_add_nc_u32_e32 v9, 20, v20
	v_add_nc_u32_e32 v31, 19, v20
	s_delay_alu instid0(VALU_DEP_2) | instskip(NEXT) | instid1(VALU_DEP_1)
	v_lshlrev_b64 v[9:10], v9, -1
	v_not_b32_e32 v33, v9
	s_delay_alu instid0(VALU_DEP_2) | instskip(NEXT) | instid1(VALU_DEP_4)
	v_not_b32_e32 v32, v10
	v_lshlrev_b64 v[9:10], v31, 1
	s_delay_alu instid0(VALU_DEP_3) | instskip(SKIP_1) | instid1(VALU_DEP_4)
	v_and_b32_e32 v31, v7, v33
	v_lshrrev_b64 v[7:8], v20, v[7:8]
	v_and_b32_e32 v32, 0, v32
	s_delay_alu instid0(VALU_DEP_1) | instskip(NEXT) | instid1(VALU_DEP_3)
	v_cmp_eq_u64_e64 s0, v[31:32], v[9:10]
	v_dual_mov_b32 v10, v8 :: v_dual_mov_b32 v9, v7
	s_delay_alu instid0(VALU_DEP_2)
	s_and_saveexec_b32 s5, s0
; %bb.143:
	v_bfe_u32 v9, v7, 20, 1
	s_delay_alu instid0(VALU_DEP_1) | instskip(NEXT) | instid1(VALU_DEP_1)
	v_add_co_u32 v9, s0, v7, v9
	v_add_co_u32 v9, s0, v9, -1
; %bb.144:
	s_or_b32 exec_lo, exec_lo, s5
	v_add_nc_u32_e32 v10, 0xffffff81, v18
	v_lshrrev_b32_e32 v18, 23, v7
	s_delay_alu instid0(VALU_DEP_3) | instskip(SKIP_1) | instid1(VALU_DEP_3)
	v_and_b32_e32 v9, 0xfffff, v9
	s_mov_b32 s0, exec_lo
	v_cndmask_b32_e64 v10, v10, 0xffffff82, vcc_lo
	s_delay_alu instid0(VALU_DEP_2) | instskip(SKIP_1) | instid1(VALU_DEP_3)
	v_add_co_u32 v7, vcc_lo, v9, v7
	v_add_co_ci_u32_e32 v8, vcc_lo, 0, v8, vcc_lo
	v_add3_u32 v10, v20, v10, v18
                                        ; implicit-def: $vgpr9
	s_delay_alu instid0(VALU_DEP_1) | instskip(NEXT) | instid1(VALU_DEP_1)
	v_add_nc_u32_e32 v18, 6, v10
	v_cmpx_ne_u32_e32 0, v18
	s_xor_b32 s0, exec_lo, s0
; %bb.145:
	v_cmp_lt_u64_e32 vcc_lo, 0xffffff, v[7:8]
	v_add_nc_u32_e32 v9, 7, v10
	v_cndmask_b32_e64 v10, 0, 1, vcc_lo
	s_delay_alu instid0(VALU_DEP_2) | instskip(NEXT) | instid1(VALU_DEP_2)
	v_cndmask_b32_e32 v9, v18, v9, vcc_lo
	v_lshrrev_b64 v[7:8], v10, v[7:8]
; %bb.146:
	s_and_not1_saveexec_b32 s0, s0
; %bb.147:
	s_delay_alu instid0(VALU_DEP_1)
	v_bfe_u32 v9, v7, 23, 1
; %bb.148:
	s_or_b32 exec_lo, exec_lo, s0
	s_delay_alu instid0(VALU_DEP_2) | instskip(NEXT) | instid1(VALU_DEP_2)
	v_lshrrev_b64 v[7:8], 20, v[7:8]
	v_cmp_gt_i32_e32 vcc_lo, 16, v9
	v_cmp_ne_u32_e64 s0, 0, v9
                                        ; implicit-def: $vgpr18
	s_delay_alu instid0(VALU_DEP_3) | instskip(NEXT) | instid1(VALU_DEP_1)
	v_dual_cndmask_b32 v8, 0, v8 :: v_dual_cndmask_b32 v7, 7, v7
	v_cmp_ne_u64_e32 vcc_lo, 0, v[7:8]
	s_delay_alu instid0(VALU_DEP_3) | instskip(NEXT) | instid1(SALU_CYCLE_1)
	s_or_b32 s0, s0, vcc_lo
	s_and_saveexec_b32 s5, s0
	s_delay_alu instid0(SALU_CYCLE_1)
	s_xor_b32 s0, exec_lo, s5
; %bb.149:
	v_min_i32_e32 v8, 15, v9
	s_delay_alu instid0(VALU_DEP_1) | instskip(NEXT) | instid1(VALU_DEP_1)
	v_lshl_or_b32 v8, v8, 3, v19
                                        ; implicit-def: $vgpr19
	v_and_or_b32 v18, v7, 7, v8
; %bb.150:
	s_and_not1_saveexec_b32 s0, s0
; %bb.151:
	v_mov_b32_e32 v18, v19
; %bb.152:
	s_or_b32 exec_lo, exec_lo, s0
.LBB8_153:
	s_delay_alu instid0(SALU_CYCLE_1)
	s_or_b32 exec_lo, exec_lo, s4
.LBB8_154:
	s_and_not1_saveexec_b32 s0, s3
	s_delay_alu instid0(SALU_CYCLE_1)
	s_or_b32 exec_lo, exec_lo, s0
                                        ; implicit-def: $vgpr10
                                        ; implicit-def: $vgpr7_vgpr8
.LBB8_155:
	s_and_not1_saveexec_b32 s0, s2
; %bb.156:
	v_cmp_eq_u64_e32 vcc_lo, 0, v[7:8]
	v_or_b32_e32 v9, 0x7f, v10
	s_delay_alu instid0(VALU_DEP_1)
	v_cndmask_b32_e32 v18, v9, v18, vcc_lo
; %bb.157:
	s_or_b32 exec_lo, exec_lo, s0
	v_dual_mul_f32 v7, v14, v30 :: v_dual_mov_b32 v8, 0
	s_mov_b32 s0, 0xc3e00000
	s_delay_alu instid0(VALU_DEP_1) | instid1(SALU_CYCLE_1)
	v_maxmin_f32 v9, v7, s0, 0x43e00000
	s_mov_b32 s0, exec_lo
	s_delay_alu instid0(VALU_DEP_2) | instskip(NEXT) | instid1(VALU_DEP_2)
	v_mov_b32_e32 v31, v8
	v_lshrrev_b32_e32 v10, 24, v9
	v_and_b32_e32 v30, 0x7f800000, v9
	v_and_b32_e32 v7, 0x7fffff, v9
	s_delay_alu instid0(VALU_DEP_3) | instskip(NEXT) | instid1(VALU_DEP_1)
	v_and_b32_e32 v20, 0x80, v10
	v_or_b32_e32 v19, 0x7e, v20
	s_delay_alu instid0(VALU_DEP_4)
	v_cmpx_ne_u64_e32 0x7f800000, v[30:31]
	s_xor_b32 s2, exec_lo, s0
	s_cbranch_execz .LBB8_173
; %bb.158:
	v_dual_mov_b32 v31, v8 :: v_dual_and_b32 v30, 0x7fffffff, v9
	s_mov_b32 s0, exec_lo
	s_delay_alu instid0(VALU_DEP_1)
	v_cmpx_gt_u64_e32 0x43e00001, v[30:31]
	s_xor_b32 s3, exec_lo, s0
	s_cbranch_execz .LBB8_172
; %bb.159:
	v_mov_b32_e32 v19, 0
	s_mov_b32 s4, exec_lo
	v_cmpx_ne_u32_e32 0, v9
	s_cbranch_execz .LBB8_171
; %bb.160:
	v_bfe_u32 v19, v9, 23, 8
	v_or_b32_e32 v31, 0x800000, v7
	s_delay_alu instid0(VALU_DEP_2) | instskip(SKIP_1) | instid1(VALU_DEP_2)
	v_sub_nc_u32_e32 v9, 0x79, v19
	v_cmp_gt_u32_e32 vcc_lo, 0x7a, v19
	v_cndmask_b32_e32 v9, 0, v9, vcc_lo
	v_cmp_eq_u32_e32 vcc_lo, 0, v19
	s_delay_alu instid0(VALU_DEP_2) | instskip(SKIP_1) | instid1(VALU_DEP_2)
	v_cndmask_b32_e64 v30, v9, 0x78, vcc_lo
	v_cndmask_b32_e32 v7, v31, v7, vcc_lo
	v_add_nc_u32_e32 v9, 20, v30
	v_add_nc_u32_e32 v31, 19, v30
	s_delay_alu instid0(VALU_DEP_2) | instskip(NEXT) | instid1(VALU_DEP_1)
	v_lshlrev_b64 v[9:10], v9, -1
	v_not_b32_e32 v33, v9
	s_delay_alu instid0(VALU_DEP_2) | instskip(NEXT) | instid1(VALU_DEP_4)
	v_not_b32_e32 v32, v10
	v_lshlrev_b64 v[9:10], v31, 1
	s_delay_alu instid0(VALU_DEP_3) | instskip(SKIP_1) | instid1(VALU_DEP_4)
	v_and_b32_e32 v31, v7, v33
	v_lshrrev_b64 v[7:8], v30, v[7:8]
	v_and_b32_e32 v32, 0, v32
	s_delay_alu instid0(VALU_DEP_1) | instskip(NEXT) | instid1(VALU_DEP_3)
	v_cmp_eq_u64_e64 s0, v[31:32], v[9:10]
	v_dual_mov_b32 v10, v8 :: v_dual_mov_b32 v9, v7
	s_delay_alu instid0(VALU_DEP_2)
	s_and_saveexec_b32 s5, s0
; %bb.161:
	v_bfe_u32 v9, v7, 20, 1
	s_delay_alu instid0(VALU_DEP_1) | instskip(NEXT) | instid1(VALU_DEP_1)
	v_add_co_u32 v9, s0, v7, v9
	v_add_co_u32 v9, s0, v9, -1
; %bb.162:
	s_or_b32 exec_lo, exec_lo, s5
	v_add_nc_u32_e32 v10, 0xffffff81, v19
	v_lshrrev_b32_e32 v19, 23, v7
	s_delay_alu instid0(VALU_DEP_3) | instskip(SKIP_1) | instid1(VALU_DEP_3)
	v_and_b32_e32 v9, 0xfffff, v9
	s_mov_b32 s0, exec_lo
	v_cndmask_b32_e64 v10, v10, 0xffffff82, vcc_lo
	s_delay_alu instid0(VALU_DEP_2) | instskip(SKIP_1) | instid1(VALU_DEP_3)
	v_add_co_u32 v7, vcc_lo, v9, v7
	v_add_co_ci_u32_e32 v8, vcc_lo, 0, v8, vcc_lo
	v_add3_u32 v10, v30, v10, v19
                                        ; implicit-def: $vgpr9
	s_delay_alu instid0(VALU_DEP_1) | instskip(NEXT) | instid1(VALU_DEP_1)
	v_add_nc_u32_e32 v19, 6, v10
	v_cmpx_ne_u32_e32 0, v19
	s_xor_b32 s0, exec_lo, s0
; %bb.163:
	v_cmp_lt_u64_e32 vcc_lo, 0xffffff, v[7:8]
	v_add_nc_u32_e32 v9, 7, v10
	v_cndmask_b32_e64 v10, 0, 1, vcc_lo
	s_delay_alu instid0(VALU_DEP_2) | instskip(NEXT) | instid1(VALU_DEP_2)
	v_cndmask_b32_e32 v9, v19, v9, vcc_lo
	v_lshrrev_b64 v[7:8], v10, v[7:8]
; %bb.164:
	s_and_not1_saveexec_b32 s0, s0
; %bb.165:
	s_delay_alu instid0(VALU_DEP_1)
	v_bfe_u32 v9, v7, 23, 1
; %bb.166:
	s_or_b32 exec_lo, exec_lo, s0
	s_delay_alu instid0(VALU_DEP_2) | instskip(NEXT) | instid1(VALU_DEP_2)
	v_lshrrev_b64 v[7:8], 20, v[7:8]
	v_cmp_gt_i32_e32 vcc_lo, 16, v9
	v_cmp_ne_u32_e64 s0, 0, v9
                                        ; implicit-def: $vgpr19
	s_delay_alu instid0(VALU_DEP_3) | instskip(NEXT) | instid1(VALU_DEP_1)
	v_dual_cndmask_b32 v8, 0, v8 :: v_dual_cndmask_b32 v7, 7, v7
	v_cmp_ne_u64_e32 vcc_lo, 0, v[7:8]
	s_delay_alu instid0(VALU_DEP_3) | instskip(NEXT) | instid1(SALU_CYCLE_1)
	s_or_b32 s0, s0, vcc_lo
	s_and_saveexec_b32 s5, s0
	s_delay_alu instid0(SALU_CYCLE_1)
	s_xor_b32 s0, exec_lo, s5
; %bb.167:
	v_min_i32_e32 v8, 15, v9
	s_delay_alu instid0(VALU_DEP_1) | instskip(NEXT) | instid1(VALU_DEP_1)
	v_lshl_or_b32 v8, v8, 3, v20
                                        ; implicit-def: $vgpr20
	v_and_or_b32 v19, v7, 7, v8
; %bb.168:
	s_and_not1_saveexec_b32 s0, s0
; %bb.169:
	v_mov_b32_e32 v19, v20
; %bb.170:
	s_or_b32 exec_lo, exec_lo, s0
.LBB8_171:
	s_delay_alu instid0(SALU_CYCLE_1)
	s_or_b32 exec_lo, exec_lo, s4
.LBB8_172:
	s_and_not1_saveexec_b32 s0, s3
	s_delay_alu instid0(SALU_CYCLE_1)
	s_or_b32 exec_lo, exec_lo, s0
                                        ; implicit-def: $vgpr10
                                        ; implicit-def: $vgpr7_vgpr8
.LBB8_173:
	s_and_not1_saveexec_b32 s0, s2
; %bb.174:
	v_cmp_eq_u64_e32 vcc_lo, 0, v[7:8]
	v_or_b32_e32 v9, 0x7f, v10
	s_delay_alu instid0(VALU_DEP_1)
	v_cndmask_b32_e32 v19, v9, v19, vcc_lo
; %bb.175:
	s_or_b32 exec_lo, exec_lo, s0
	v_dual_mul_f32 v7, v14, v29 :: v_dual_mov_b32 v8, 0
	s_mov_b32 s0, 0xc3e00000
	s_delay_alu instid0(VALU_DEP_1) | instid1(SALU_CYCLE_1)
	v_maxmin_f32 v9, v7, s0, 0x43e00000
	s_mov_b32 s0, exec_lo
	s_delay_alu instid0(VALU_DEP_2) | instskip(NEXT) | instid1(VALU_DEP_2)
	v_mov_b32_e32 v31, v8
	v_lshrrev_b32_e32 v10, 24, v9
	v_and_b32_e32 v30, 0x7f800000, v9
	v_and_b32_e32 v7, 0x7fffff, v9
	s_delay_alu instid0(VALU_DEP_3) | instskip(NEXT) | instid1(VALU_DEP_1)
	v_and_b32_e32 v29, 0x80, v10
	v_or_b32_e32 v20, 0x7e, v29
	s_delay_alu instid0(VALU_DEP_4)
	v_cmpx_ne_u64_e32 0x7f800000, v[30:31]
	s_xor_b32 s2, exec_lo, s0
	s_cbranch_execz .LBB8_191
; %bb.176:
	v_dual_mov_b32 v31, v8 :: v_dual_and_b32 v30, 0x7fffffff, v9
	s_mov_b32 s0, exec_lo
	s_delay_alu instid0(VALU_DEP_1)
	v_cmpx_gt_u64_e32 0x43e00001, v[30:31]
	s_xor_b32 s3, exec_lo, s0
	s_cbranch_execz .LBB8_190
; %bb.177:
	v_mov_b32_e32 v20, 0
	s_mov_b32 s4, exec_lo
	v_cmpx_ne_u32_e32 0, v9
	s_cbranch_execz .LBB8_189
; %bb.178:
	v_bfe_u32 v20, v9, 23, 8
	v_or_b32_e32 v31, 0x800000, v7
	s_delay_alu instid0(VALU_DEP_2) | instskip(SKIP_1) | instid1(VALU_DEP_2)
	v_sub_nc_u32_e32 v9, 0x79, v20
	v_cmp_gt_u32_e32 vcc_lo, 0x7a, v20
	v_cndmask_b32_e32 v9, 0, v9, vcc_lo
	v_cmp_eq_u32_e32 vcc_lo, 0, v20
	s_delay_alu instid0(VALU_DEP_2) | instskip(SKIP_1) | instid1(VALU_DEP_2)
	v_cndmask_b32_e64 v30, v9, 0x78, vcc_lo
	v_cndmask_b32_e32 v7, v31, v7, vcc_lo
	v_add_nc_u32_e32 v9, 20, v30
	v_add_nc_u32_e32 v31, 19, v30
	s_delay_alu instid0(VALU_DEP_2) | instskip(NEXT) | instid1(VALU_DEP_1)
	v_lshlrev_b64 v[9:10], v9, -1
	v_not_b32_e32 v33, v9
	s_delay_alu instid0(VALU_DEP_2) | instskip(NEXT) | instid1(VALU_DEP_4)
	v_not_b32_e32 v32, v10
	v_lshlrev_b64 v[9:10], v31, 1
	s_delay_alu instid0(VALU_DEP_3) | instskip(SKIP_1) | instid1(VALU_DEP_4)
	v_and_b32_e32 v31, v7, v33
	v_lshrrev_b64 v[7:8], v30, v[7:8]
	v_and_b32_e32 v32, 0, v32
	s_delay_alu instid0(VALU_DEP_1) | instskip(NEXT) | instid1(VALU_DEP_3)
	v_cmp_eq_u64_e64 s0, v[31:32], v[9:10]
	v_dual_mov_b32 v10, v8 :: v_dual_mov_b32 v9, v7
	s_delay_alu instid0(VALU_DEP_2)
	s_and_saveexec_b32 s5, s0
; %bb.179:
	v_bfe_u32 v9, v7, 20, 1
	s_delay_alu instid0(VALU_DEP_1) | instskip(NEXT) | instid1(VALU_DEP_1)
	v_add_co_u32 v9, s0, v7, v9
	v_add_co_u32 v9, s0, v9, -1
; %bb.180:
	s_or_b32 exec_lo, exec_lo, s5
	v_add_nc_u32_e32 v10, 0xffffff81, v20
	v_lshrrev_b32_e32 v20, 23, v7
	s_delay_alu instid0(VALU_DEP_3) | instskip(SKIP_1) | instid1(VALU_DEP_3)
	v_and_b32_e32 v9, 0xfffff, v9
	s_mov_b32 s0, exec_lo
	v_cndmask_b32_e64 v10, v10, 0xffffff82, vcc_lo
	s_delay_alu instid0(VALU_DEP_2) | instskip(SKIP_1) | instid1(VALU_DEP_3)
	v_add_co_u32 v7, vcc_lo, v9, v7
	v_add_co_ci_u32_e32 v8, vcc_lo, 0, v8, vcc_lo
	v_add3_u32 v10, v30, v10, v20
                                        ; implicit-def: $vgpr9
	s_delay_alu instid0(VALU_DEP_1) | instskip(NEXT) | instid1(VALU_DEP_1)
	v_add_nc_u32_e32 v20, 6, v10
	v_cmpx_ne_u32_e32 0, v20
	s_xor_b32 s0, exec_lo, s0
; %bb.181:
	v_cmp_lt_u64_e32 vcc_lo, 0xffffff, v[7:8]
	v_add_nc_u32_e32 v9, 7, v10
	v_cndmask_b32_e64 v10, 0, 1, vcc_lo
	s_delay_alu instid0(VALU_DEP_2) | instskip(NEXT) | instid1(VALU_DEP_2)
	v_cndmask_b32_e32 v9, v20, v9, vcc_lo
	v_lshrrev_b64 v[7:8], v10, v[7:8]
; %bb.182:
	s_and_not1_saveexec_b32 s0, s0
; %bb.183:
	s_delay_alu instid0(VALU_DEP_1)
	v_bfe_u32 v9, v7, 23, 1
; %bb.184:
	s_or_b32 exec_lo, exec_lo, s0
	s_delay_alu instid0(VALU_DEP_2) | instskip(NEXT) | instid1(VALU_DEP_2)
	v_lshrrev_b64 v[7:8], 20, v[7:8]
	v_cmp_gt_i32_e32 vcc_lo, 16, v9
	v_cmp_ne_u32_e64 s0, 0, v9
                                        ; implicit-def: $vgpr20
	s_delay_alu instid0(VALU_DEP_3) | instskip(NEXT) | instid1(VALU_DEP_1)
	v_dual_cndmask_b32 v8, 0, v8 :: v_dual_cndmask_b32 v7, 7, v7
	v_cmp_ne_u64_e32 vcc_lo, 0, v[7:8]
	s_delay_alu instid0(VALU_DEP_3) | instskip(NEXT) | instid1(SALU_CYCLE_1)
	s_or_b32 s0, s0, vcc_lo
	s_and_saveexec_b32 s5, s0
	s_delay_alu instid0(SALU_CYCLE_1)
	s_xor_b32 s0, exec_lo, s5
; %bb.185:
	v_min_i32_e32 v8, 15, v9
	s_delay_alu instid0(VALU_DEP_1) | instskip(NEXT) | instid1(VALU_DEP_1)
	v_lshl_or_b32 v8, v8, 3, v29
                                        ; implicit-def: $vgpr29
	v_and_or_b32 v20, v7, 7, v8
; %bb.186:
	s_and_not1_saveexec_b32 s0, s0
; %bb.187:
	v_mov_b32_e32 v20, v29
; %bb.188:
	s_or_b32 exec_lo, exec_lo, s0
.LBB8_189:
	s_delay_alu instid0(SALU_CYCLE_1)
	s_or_b32 exec_lo, exec_lo, s4
.LBB8_190:
	s_and_not1_saveexec_b32 s0, s3
	s_delay_alu instid0(SALU_CYCLE_1)
	s_or_b32 exec_lo, exec_lo, s0
                                        ; implicit-def: $vgpr10
                                        ; implicit-def: $vgpr7_vgpr8
.LBB8_191:
	s_and_not1_saveexec_b32 s0, s2
; %bb.192:
	v_cmp_eq_u64_e32 vcc_lo, 0, v[7:8]
	v_or_b32_e32 v9, 0x7f, v10
	s_delay_alu instid0(VALU_DEP_1)
	v_cndmask_b32_e32 v20, v9, v20, vcc_lo
; %bb.193:
	s_or_b32 exec_lo, exec_lo, s0
	v_dual_mul_f32 v7, v14, v26 :: v_dual_mov_b32 v8, 0
	s_mov_b32 s0, 0xc3e00000
	s_delay_alu instid0(VALU_DEP_1) | instid1(SALU_CYCLE_1)
	v_maxmin_f32 v9, v7, s0, 0x43e00000
	s_mov_b32 s0, exec_lo
	s_delay_alu instid0(VALU_DEP_2) | instskip(NEXT) | instid1(VALU_DEP_2)
	v_mov_b32_e32 v31, v8
	v_lshrrev_b32_e32 v10, 24, v9
	v_and_b32_e32 v30, 0x7f800000, v9
	v_and_b32_e32 v7, 0x7fffff, v9
	s_delay_alu instid0(VALU_DEP_3) | instskip(NEXT) | instid1(VALU_DEP_1)
	v_and_b32_e32 v29, 0x80, v10
	v_or_b32_e32 v26, 0x7e, v29
	s_delay_alu instid0(VALU_DEP_4)
	v_cmpx_ne_u64_e32 0x7f800000, v[30:31]
	s_xor_b32 s2, exec_lo, s0
	s_cbranch_execz .LBB8_209
; %bb.194:
	v_dual_mov_b32 v31, v8 :: v_dual_and_b32 v30, 0x7fffffff, v9
	s_mov_b32 s0, exec_lo
	s_delay_alu instid0(VALU_DEP_1)
	v_cmpx_gt_u64_e32 0x43e00001, v[30:31]
	s_xor_b32 s3, exec_lo, s0
	s_cbranch_execz .LBB8_208
; %bb.195:
	v_mov_b32_e32 v26, 0
	s_mov_b32 s4, exec_lo
	v_cmpx_ne_u32_e32 0, v9
	s_cbranch_execz .LBB8_207
; %bb.196:
	v_bfe_u32 v26, v9, 23, 8
	v_or_b32_e32 v31, 0x800000, v7
	s_delay_alu instid0(VALU_DEP_2) | instskip(SKIP_1) | instid1(VALU_DEP_2)
	v_sub_nc_u32_e32 v9, 0x79, v26
	v_cmp_gt_u32_e32 vcc_lo, 0x7a, v26
	v_cndmask_b32_e32 v9, 0, v9, vcc_lo
	v_cmp_eq_u32_e32 vcc_lo, 0, v26
	s_delay_alu instid0(VALU_DEP_2) | instskip(SKIP_1) | instid1(VALU_DEP_2)
	v_cndmask_b32_e64 v30, v9, 0x78, vcc_lo
	v_cndmask_b32_e32 v7, v31, v7, vcc_lo
	v_add_nc_u32_e32 v9, 20, v30
	v_add_nc_u32_e32 v31, 19, v30
	s_delay_alu instid0(VALU_DEP_2) | instskip(NEXT) | instid1(VALU_DEP_1)
	v_lshlrev_b64 v[9:10], v9, -1
	v_not_b32_e32 v33, v9
	s_delay_alu instid0(VALU_DEP_2) | instskip(NEXT) | instid1(VALU_DEP_4)
	v_not_b32_e32 v32, v10
	v_lshlrev_b64 v[9:10], v31, 1
	s_delay_alu instid0(VALU_DEP_3) | instskip(SKIP_1) | instid1(VALU_DEP_4)
	v_and_b32_e32 v31, v7, v33
	v_lshrrev_b64 v[7:8], v30, v[7:8]
	v_and_b32_e32 v32, 0, v32
	s_delay_alu instid0(VALU_DEP_1) | instskip(NEXT) | instid1(VALU_DEP_3)
	v_cmp_eq_u64_e64 s0, v[31:32], v[9:10]
	v_dual_mov_b32 v10, v8 :: v_dual_mov_b32 v9, v7
	s_delay_alu instid0(VALU_DEP_2)
	s_and_saveexec_b32 s5, s0
; %bb.197:
	v_bfe_u32 v9, v7, 20, 1
	s_delay_alu instid0(VALU_DEP_1) | instskip(NEXT) | instid1(VALU_DEP_1)
	v_add_co_u32 v9, s0, v7, v9
	v_add_co_u32 v9, s0, v9, -1
; %bb.198:
	s_or_b32 exec_lo, exec_lo, s5
	v_add_nc_u32_e32 v10, 0xffffff81, v26
	v_lshrrev_b32_e32 v26, 23, v7
	s_delay_alu instid0(VALU_DEP_3) | instskip(SKIP_1) | instid1(VALU_DEP_3)
	v_and_b32_e32 v9, 0xfffff, v9
	s_mov_b32 s0, exec_lo
	v_cndmask_b32_e64 v10, v10, 0xffffff82, vcc_lo
	s_delay_alu instid0(VALU_DEP_2) | instskip(SKIP_1) | instid1(VALU_DEP_3)
	v_add_co_u32 v7, vcc_lo, v9, v7
	v_add_co_ci_u32_e32 v8, vcc_lo, 0, v8, vcc_lo
	v_add3_u32 v10, v30, v10, v26
                                        ; implicit-def: $vgpr9
	s_delay_alu instid0(VALU_DEP_1) | instskip(NEXT) | instid1(VALU_DEP_1)
	v_add_nc_u32_e32 v26, 6, v10
	v_cmpx_ne_u32_e32 0, v26
	s_xor_b32 s0, exec_lo, s0
; %bb.199:
	v_cmp_lt_u64_e32 vcc_lo, 0xffffff, v[7:8]
	v_add_nc_u32_e32 v9, 7, v10
	v_cndmask_b32_e64 v10, 0, 1, vcc_lo
	s_delay_alu instid0(VALU_DEP_2) | instskip(NEXT) | instid1(VALU_DEP_2)
	v_cndmask_b32_e32 v9, v26, v9, vcc_lo
	v_lshrrev_b64 v[7:8], v10, v[7:8]
; %bb.200:
	s_and_not1_saveexec_b32 s0, s0
; %bb.201:
	s_delay_alu instid0(VALU_DEP_1)
	v_bfe_u32 v9, v7, 23, 1
; %bb.202:
	s_or_b32 exec_lo, exec_lo, s0
	s_delay_alu instid0(VALU_DEP_2) | instskip(NEXT) | instid1(VALU_DEP_2)
	v_lshrrev_b64 v[7:8], 20, v[7:8]
	v_cmp_gt_i32_e32 vcc_lo, 16, v9
	v_cmp_ne_u32_e64 s0, 0, v9
                                        ; implicit-def: $vgpr26
	s_delay_alu instid0(VALU_DEP_3) | instskip(NEXT) | instid1(VALU_DEP_1)
	v_dual_cndmask_b32 v8, 0, v8 :: v_dual_cndmask_b32 v7, 7, v7
	v_cmp_ne_u64_e32 vcc_lo, 0, v[7:8]
	s_delay_alu instid0(VALU_DEP_3) | instskip(NEXT) | instid1(SALU_CYCLE_1)
	s_or_b32 s0, s0, vcc_lo
	s_and_saveexec_b32 s5, s0
	s_delay_alu instid0(SALU_CYCLE_1)
	s_xor_b32 s0, exec_lo, s5
; %bb.203:
	v_min_i32_e32 v8, 15, v9
	s_delay_alu instid0(VALU_DEP_1) | instskip(NEXT) | instid1(VALU_DEP_1)
	v_lshl_or_b32 v8, v8, 3, v29
                                        ; implicit-def: $vgpr29
	v_and_or_b32 v26, v7, 7, v8
; %bb.204:
	s_and_not1_saveexec_b32 s0, s0
; %bb.205:
	v_mov_b32_e32 v26, v29
; %bb.206:
	s_or_b32 exec_lo, exec_lo, s0
.LBB8_207:
	s_delay_alu instid0(SALU_CYCLE_1)
	s_or_b32 exec_lo, exec_lo, s4
.LBB8_208:
	s_and_not1_saveexec_b32 s0, s3
	s_delay_alu instid0(SALU_CYCLE_1)
	s_or_b32 exec_lo, exec_lo, s0
                                        ; implicit-def: $vgpr10
                                        ; implicit-def: $vgpr7_vgpr8
.LBB8_209:
	s_and_not1_saveexec_b32 s0, s2
; %bb.210:
	v_cmp_eq_u64_e32 vcc_lo, 0, v[7:8]
	v_or_b32_e32 v9, 0x7f, v10
	s_delay_alu instid0(VALU_DEP_1)
	v_cndmask_b32_e32 v26, v9, v26, vcc_lo
; %bb.211:
	s_or_b32 exec_lo, exec_lo, s0
	v_dual_mul_f32 v7, v14, v28 :: v_dual_mov_b32 v8, 0
	s_mov_b32 s0, 0xc3e00000
	s_delay_alu instid0(VALU_DEP_1) | instid1(SALU_CYCLE_1)
	v_maxmin_f32 v9, v7, s0, 0x43e00000
	s_mov_b32 s0, exec_lo
	s_delay_alu instid0(VALU_DEP_2) | instskip(NEXT) | instid1(VALU_DEP_2)
	v_mov_b32_e32 v31, v8
	v_lshrrev_b32_e32 v10, 24, v9
	v_and_b32_e32 v30, 0x7f800000, v9
	v_and_b32_e32 v7, 0x7fffff, v9
	s_delay_alu instid0(VALU_DEP_3) | instskip(NEXT) | instid1(VALU_DEP_1)
	v_and_b32_e32 v29, 0x80, v10
	v_or_b32_e32 v28, 0x7e, v29
	s_delay_alu instid0(VALU_DEP_4)
	v_cmpx_ne_u64_e32 0x7f800000, v[30:31]
	s_xor_b32 s2, exec_lo, s0
	s_cbranch_execz .LBB8_227
; %bb.212:
	v_dual_mov_b32 v31, v8 :: v_dual_and_b32 v30, 0x7fffffff, v9
	s_mov_b32 s0, exec_lo
	s_delay_alu instid0(VALU_DEP_1)
	v_cmpx_gt_u64_e32 0x43e00001, v[30:31]
	s_xor_b32 s3, exec_lo, s0
	s_cbranch_execz .LBB8_226
; %bb.213:
	v_mov_b32_e32 v28, 0
	s_mov_b32 s4, exec_lo
	v_cmpx_ne_u32_e32 0, v9
	s_cbranch_execz .LBB8_225
; %bb.214:
	v_bfe_u32 v28, v9, 23, 8
	v_or_b32_e32 v31, 0x800000, v7
	s_delay_alu instid0(VALU_DEP_2) | instskip(SKIP_1) | instid1(VALU_DEP_2)
	v_sub_nc_u32_e32 v9, 0x79, v28
	v_cmp_gt_u32_e32 vcc_lo, 0x7a, v28
	v_cndmask_b32_e32 v9, 0, v9, vcc_lo
	v_cmp_eq_u32_e32 vcc_lo, 0, v28
	s_delay_alu instid0(VALU_DEP_2) | instskip(SKIP_1) | instid1(VALU_DEP_2)
	v_cndmask_b32_e64 v30, v9, 0x78, vcc_lo
	v_cndmask_b32_e32 v7, v31, v7, vcc_lo
	v_add_nc_u32_e32 v9, 20, v30
	v_add_nc_u32_e32 v31, 19, v30
	s_delay_alu instid0(VALU_DEP_2) | instskip(NEXT) | instid1(VALU_DEP_1)
	v_lshlrev_b64 v[9:10], v9, -1
	v_not_b32_e32 v33, v9
	s_delay_alu instid0(VALU_DEP_2) | instskip(NEXT) | instid1(VALU_DEP_4)
	v_not_b32_e32 v32, v10
	v_lshlrev_b64 v[9:10], v31, 1
	s_delay_alu instid0(VALU_DEP_3) | instskip(SKIP_1) | instid1(VALU_DEP_4)
	v_and_b32_e32 v31, v7, v33
	v_lshrrev_b64 v[7:8], v30, v[7:8]
	v_and_b32_e32 v32, 0, v32
	s_delay_alu instid0(VALU_DEP_1) | instskip(NEXT) | instid1(VALU_DEP_3)
	v_cmp_eq_u64_e64 s0, v[31:32], v[9:10]
	v_dual_mov_b32 v10, v8 :: v_dual_mov_b32 v9, v7
	s_delay_alu instid0(VALU_DEP_2)
	s_and_saveexec_b32 s5, s0
; %bb.215:
	v_bfe_u32 v9, v7, 20, 1
	s_delay_alu instid0(VALU_DEP_1) | instskip(NEXT) | instid1(VALU_DEP_1)
	v_add_co_u32 v9, s0, v7, v9
	v_add_co_u32 v9, s0, v9, -1
; %bb.216:
	s_or_b32 exec_lo, exec_lo, s5
	v_add_nc_u32_e32 v10, 0xffffff81, v28
	v_lshrrev_b32_e32 v28, 23, v7
	s_delay_alu instid0(VALU_DEP_3) | instskip(SKIP_1) | instid1(VALU_DEP_3)
	v_and_b32_e32 v9, 0xfffff, v9
	s_mov_b32 s0, exec_lo
	v_cndmask_b32_e64 v10, v10, 0xffffff82, vcc_lo
	s_delay_alu instid0(VALU_DEP_2) | instskip(SKIP_1) | instid1(VALU_DEP_3)
	v_add_co_u32 v7, vcc_lo, v9, v7
	v_add_co_ci_u32_e32 v8, vcc_lo, 0, v8, vcc_lo
	v_add3_u32 v10, v30, v10, v28
                                        ; implicit-def: $vgpr9
	s_delay_alu instid0(VALU_DEP_1) | instskip(NEXT) | instid1(VALU_DEP_1)
	v_add_nc_u32_e32 v28, 6, v10
	v_cmpx_ne_u32_e32 0, v28
	s_xor_b32 s0, exec_lo, s0
; %bb.217:
	v_cmp_lt_u64_e32 vcc_lo, 0xffffff, v[7:8]
	v_add_nc_u32_e32 v9, 7, v10
	v_cndmask_b32_e64 v10, 0, 1, vcc_lo
	s_delay_alu instid0(VALU_DEP_2) | instskip(NEXT) | instid1(VALU_DEP_2)
	v_cndmask_b32_e32 v9, v28, v9, vcc_lo
	v_lshrrev_b64 v[7:8], v10, v[7:8]
; %bb.218:
	s_and_not1_saveexec_b32 s0, s0
; %bb.219:
	s_delay_alu instid0(VALU_DEP_1)
	v_bfe_u32 v9, v7, 23, 1
; %bb.220:
	s_or_b32 exec_lo, exec_lo, s0
	s_delay_alu instid0(VALU_DEP_2) | instskip(NEXT) | instid1(VALU_DEP_2)
	v_lshrrev_b64 v[7:8], 20, v[7:8]
	v_cmp_gt_i32_e32 vcc_lo, 16, v9
	v_cmp_ne_u32_e64 s0, 0, v9
                                        ; implicit-def: $vgpr28
	s_delay_alu instid0(VALU_DEP_3) | instskip(NEXT) | instid1(VALU_DEP_1)
	v_dual_cndmask_b32 v8, 0, v8 :: v_dual_cndmask_b32 v7, 7, v7
	v_cmp_ne_u64_e32 vcc_lo, 0, v[7:8]
	s_delay_alu instid0(VALU_DEP_3) | instskip(NEXT) | instid1(SALU_CYCLE_1)
	s_or_b32 s0, s0, vcc_lo
	s_and_saveexec_b32 s5, s0
	s_delay_alu instid0(SALU_CYCLE_1)
	s_xor_b32 s0, exec_lo, s5
; %bb.221:
	v_min_i32_e32 v8, 15, v9
	s_delay_alu instid0(VALU_DEP_1) | instskip(NEXT) | instid1(VALU_DEP_1)
	v_lshl_or_b32 v8, v8, 3, v29
                                        ; implicit-def: $vgpr29
	v_and_or_b32 v28, v7, 7, v8
; %bb.222:
	s_and_not1_saveexec_b32 s0, s0
; %bb.223:
	v_mov_b32_e32 v28, v29
; %bb.224:
	s_or_b32 exec_lo, exec_lo, s0
.LBB8_225:
	s_delay_alu instid0(SALU_CYCLE_1)
	s_or_b32 exec_lo, exec_lo, s4
.LBB8_226:
	s_and_not1_saveexec_b32 s0, s3
	s_delay_alu instid0(SALU_CYCLE_1)
	s_or_b32 exec_lo, exec_lo, s0
                                        ; implicit-def: $vgpr10
                                        ; implicit-def: $vgpr7_vgpr8
.LBB8_227:
	s_and_not1_saveexec_b32 s0, s2
; %bb.228:
	v_cmp_eq_u64_e32 vcc_lo, 0, v[7:8]
	v_or_b32_e32 v9, 0x7f, v10
	s_delay_alu instid0(VALU_DEP_1)
	v_cndmask_b32_e32 v28, v9, v28, vcc_lo
; %bb.229:
	s_or_b32 exec_lo, exec_lo, s0
	v_dual_mul_f32 v7, v14, v27 :: v_dual_mov_b32 v8, 0
	s_mov_b32 s0, 0xc3e00000
	s_delay_alu instid0(VALU_DEP_1) | instid1(SALU_CYCLE_1)
	v_maxmin_f32 v9, v7, s0, 0x43e00000
	s_mov_b32 s0, exec_lo
	s_delay_alu instid0(VALU_DEP_2) | instskip(NEXT) | instid1(VALU_DEP_2)
	v_mov_b32_e32 v31, v8
	v_lshrrev_b32_e32 v10, 24, v9
	v_and_b32_e32 v30, 0x7f800000, v9
	v_and_b32_e32 v7, 0x7fffff, v9
	s_delay_alu instid0(VALU_DEP_3) | instskip(NEXT) | instid1(VALU_DEP_1)
	v_and_b32_e32 v29, 0x80, v10
	v_or_b32_e32 v27, 0x7e, v29
	s_delay_alu instid0(VALU_DEP_4)
	v_cmpx_ne_u64_e32 0x7f800000, v[30:31]
	s_xor_b32 s2, exec_lo, s0
	s_cbranch_execz .LBB8_245
; %bb.230:
	v_dual_mov_b32 v31, v8 :: v_dual_and_b32 v30, 0x7fffffff, v9
	s_mov_b32 s0, exec_lo
	s_delay_alu instid0(VALU_DEP_1)
	v_cmpx_gt_u64_e32 0x43e00001, v[30:31]
	s_xor_b32 s3, exec_lo, s0
	s_cbranch_execz .LBB8_244
; %bb.231:
	v_mov_b32_e32 v27, 0
	s_mov_b32 s4, exec_lo
	v_cmpx_ne_u32_e32 0, v9
	s_cbranch_execz .LBB8_243
; %bb.232:
	v_bfe_u32 v27, v9, 23, 8
	v_or_b32_e32 v31, 0x800000, v7
	s_delay_alu instid0(VALU_DEP_2) | instskip(SKIP_1) | instid1(VALU_DEP_2)
	v_sub_nc_u32_e32 v9, 0x79, v27
	v_cmp_gt_u32_e32 vcc_lo, 0x7a, v27
	v_cndmask_b32_e32 v9, 0, v9, vcc_lo
	v_cmp_eq_u32_e32 vcc_lo, 0, v27
	s_delay_alu instid0(VALU_DEP_2) | instskip(SKIP_1) | instid1(VALU_DEP_2)
	v_cndmask_b32_e64 v30, v9, 0x78, vcc_lo
	v_cndmask_b32_e32 v7, v31, v7, vcc_lo
	v_add_nc_u32_e32 v9, 20, v30
	v_add_nc_u32_e32 v31, 19, v30
	s_delay_alu instid0(VALU_DEP_2) | instskip(NEXT) | instid1(VALU_DEP_1)
	v_lshlrev_b64 v[9:10], v9, -1
	v_not_b32_e32 v33, v9
	s_delay_alu instid0(VALU_DEP_2) | instskip(NEXT) | instid1(VALU_DEP_4)
	v_not_b32_e32 v32, v10
	v_lshlrev_b64 v[9:10], v31, 1
	s_delay_alu instid0(VALU_DEP_3) | instskip(SKIP_1) | instid1(VALU_DEP_4)
	v_and_b32_e32 v31, v7, v33
	v_lshrrev_b64 v[7:8], v30, v[7:8]
	v_and_b32_e32 v32, 0, v32
	s_delay_alu instid0(VALU_DEP_1) | instskip(NEXT) | instid1(VALU_DEP_3)
	v_cmp_eq_u64_e64 s0, v[31:32], v[9:10]
	v_dual_mov_b32 v10, v8 :: v_dual_mov_b32 v9, v7
	s_delay_alu instid0(VALU_DEP_2)
	s_and_saveexec_b32 s5, s0
; %bb.233:
	v_bfe_u32 v9, v7, 20, 1
	s_delay_alu instid0(VALU_DEP_1) | instskip(NEXT) | instid1(VALU_DEP_1)
	v_add_co_u32 v9, s0, v7, v9
	v_add_co_u32 v9, s0, v9, -1
; %bb.234:
	s_or_b32 exec_lo, exec_lo, s5
	v_add_nc_u32_e32 v10, 0xffffff81, v27
	v_lshrrev_b32_e32 v27, 23, v7
	s_delay_alu instid0(VALU_DEP_3) | instskip(SKIP_1) | instid1(VALU_DEP_3)
	v_and_b32_e32 v9, 0xfffff, v9
	s_mov_b32 s0, exec_lo
	v_cndmask_b32_e64 v10, v10, 0xffffff82, vcc_lo
	s_delay_alu instid0(VALU_DEP_2) | instskip(SKIP_1) | instid1(VALU_DEP_3)
	v_add_co_u32 v7, vcc_lo, v9, v7
	v_add_co_ci_u32_e32 v8, vcc_lo, 0, v8, vcc_lo
	v_add3_u32 v10, v30, v10, v27
                                        ; implicit-def: $vgpr9
	s_delay_alu instid0(VALU_DEP_1) | instskip(NEXT) | instid1(VALU_DEP_1)
	v_add_nc_u32_e32 v27, 6, v10
	v_cmpx_ne_u32_e32 0, v27
	s_xor_b32 s0, exec_lo, s0
; %bb.235:
	v_cmp_lt_u64_e32 vcc_lo, 0xffffff, v[7:8]
	v_add_nc_u32_e32 v9, 7, v10
	v_cndmask_b32_e64 v10, 0, 1, vcc_lo
	s_delay_alu instid0(VALU_DEP_2) | instskip(NEXT) | instid1(VALU_DEP_2)
	v_cndmask_b32_e32 v9, v27, v9, vcc_lo
	v_lshrrev_b64 v[7:8], v10, v[7:8]
; %bb.236:
	s_and_not1_saveexec_b32 s0, s0
; %bb.237:
	s_delay_alu instid0(VALU_DEP_1)
	v_bfe_u32 v9, v7, 23, 1
; %bb.238:
	s_or_b32 exec_lo, exec_lo, s0
	s_delay_alu instid0(VALU_DEP_2) | instskip(NEXT) | instid1(VALU_DEP_2)
	v_lshrrev_b64 v[7:8], 20, v[7:8]
	v_cmp_gt_i32_e32 vcc_lo, 16, v9
	v_cmp_ne_u32_e64 s0, 0, v9
                                        ; implicit-def: $vgpr27
	s_delay_alu instid0(VALU_DEP_3) | instskip(NEXT) | instid1(VALU_DEP_1)
	v_dual_cndmask_b32 v8, 0, v8 :: v_dual_cndmask_b32 v7, 7, v7
	v_cmp_ne_u64_e32 vcc_lo, 0, v[7:8]
	s_delay_alu instid0(VALU_DEP_3) | instskip(NEXT) | instid1(SALU_CYCLE_1)
	s_or_b32 s0, s0, vcc_lo
	s_and_saveexec_b32 s5, s0
	s_delay_alu instid0(SALU_CYCLE_1)
	s_xor_b32 s0, exec_lo, s5
; %bb.239:
	v_min_i32_e32 v8, 15, v9
	s_delay_alu instid0(VALU_DEP_1) | instskip(NEXT) | instid1(VALU_DEP_1)
	v_lshl_or_b32 v8, v8, 3, v29
                                        ; implicit-def: $vgpr29
	v_and_or_b32 v27, v7, 7, v8
; %bb.240:
	s_and_not1_saveexec_b32 s0, s0
; %bb.241:
	v_mov_b32_e32 v27, v29
; %bb.242:
	s_or_b32 exec_lo, exec_lo, s0
.LBB8_243:
	s_delay_alu instid0(SALU_CYCLE_1)
	s_or_b32 exec_lo, exec_lo, s4
.LBB8_244:
	s_and_not1_saveexec_b32 s0, s3
	s_delay_alu instid0(SALU_CYCLE_1)
	s_or_b32 exec_lo, exec_lo, s0
                                        ; implicit-def: $vgpr10
                                        ; implicit-def: $vgpr7_vgpr8
.LBB8_245:
	s_and_not1_saveexec_b32 s0, s2
; %bb.246:
	v_cmp_eq_u64_e32 vcc_lo, 0, v[7:8]
	v_or_b32_e32 v9, 0x7f, v10
	s_delay_alu instid0(VALU_DEP_1)
	v_cndmask_b32_e32 v27, v9, v27, vcc_lo
; %bb.247:
	s_or_b32 exec_lo, exec_lo, s0
	v_dual_mul_f32 v7, v14, v25 :: v_dual_mov_b32 v8, 0
	s_mov_b32 s0, 0xc3e00000
	s_delay_alu instid0(VALU_DEP_1) | instid1(SALU_CYCLE_1)
	v_maxmin_f32 v9, v7, s0, 0x43e00000
	s_mov_b32 s0, exec_lo
	s_delay_alu instid0(VALU_DEP_2) | instskip(NEXT) | instid1(VALU_DEP_2)
	v_mov_b32_e32 v31, v8
	v_lshrrev_b32_e32 v10, 24, v9
	v_and_b32_e32 v30, 0x7f800000, v9
	v_and_b32_e32 v7, 0x7fffff, v9
	s_delay_alu instid0(VALU_DEP_3) | instskip(NEXT) | instid1(VALU_DEP_1)
	v_and_b32_e32 v29, 0x80, v10
	v_or_b32_e32 v25, 0x7e, v29
	s_delay_alu instid0(VALU_DEP_4)
	v_cmpx_ne_u64_e32 0x7f800000, v[30:31]
	s_xor_b32 s2, exec_lo, s0
	s_cbranch_execz .LBB8_263
; %bb.248:
	v_dual_mov_b32 v31, v8 :: v_dual_and_b32 v30, 0x7fffffff, v9
	s_mov_b32 s0, exec_lo
	s_delay_alu instid0(VALU_DEP_1)
	v_cmpx_gt_u64_e32 0x43e00001, v[30:31]
	s_xor_b32 s3, exec_lo, s0
	s_cbranch_execz .LBB8_262
; %bb.249:
	v_mov_b32_e32 v25, 0
	s_mov_b32 s4, exec_lo
	v_cmpx_ne_u32_e32 0, v9
	s_cbranch_execz .LBB8_261
; %bb.250:
	v_bfe_u32 v25, v9, 23, 8
	v_or_b32_e32 v31, 0x800000, v7
	s_delay_alu instid0(VALU_DEP_2) | instskip(SKIP_1) | instid1(VALU_DEP_2)
	v_sub_nc_u32_e32 v9, 0x79, v25
	v_cmp_gt_u32_e32 vcc_lo, 0x7a, v25
	v_cndmask_b32_e32 v9, 0, v9, vcc_lo
	v_cmp_eq_u32_e32 vcc_lo, 0, v25
	s_delay_alu instid0(VALU_DEP_2) | instskip(SKIP_1) | instid1(VALU_DEP_2)
	v_cndmask_b32_e64 v30, v9, 0x78, vcc_lo
	v_cndmask_b32_e32 v7, v31, v7, vcc_lo
	v_add_nc_u32_e32 v9, 20, v30
	v_add_nc_u32_e32 v31, 19, v30
	s_delay_alu instid0(VALU_DEP_2) | instskip(NEXT) | instid1(VALU_DEP_1)
	v_lshlrev_b64 v[9:10], v9, -1
	v_not_b32_e32 v33, v9
	s_delay_alu instid0(VALU_DEP_2) | instskip(NEXT) | instid1(VALU_DEP_4)
	v_not_b32_e32 v32, v10
	v_lshlrev_b64 v[9:10], v31, 1
	s_delay_alu instid0(VALU_DEP_3) | instskip(SKIP_1) | instid1(VALU_DEP_4)
	v_and_b32_e32 v31, v7, v33
	v_lshrrev_b64 v[7:8], v30, v[7:8]
	v_and_b32_e32 v32, 0, v32
	s_delay_alu instid0(VALU_DEP_1) | instskip(NEXT) | instid1(VALU_DEP_3)
	v_cmp_eq_u64_e64 s0, v[31:32], v[9:10]
	v_dual_mov_b32 v10, v8 :: v_dual_mov_b32 v9, v7
	s_delay_alu instid0(VALU_DEP_2)
	s_and_saveexec_b32 s5, s0
; %bb.251:
	v_bfe_u32 v9, v7, 20, 1
	s_delay_alu instid0(VALU_DEP_1) | instskip(NEXT) | instid1(VALU_DEP_1)
	v_add_co_u32 v9, s0, v7, v9
	v_add_co_u32 v9, s0, v9, -1
; %bb.252:
	s_or_b32 exec_lo, exec_lo, s5
	v_add_nc_u32_e32 v10, 0xffffff81, v25
	v_lshrrev_b32_e32 v25, 23, v7
	s_delay_alu instid0(VALU_DEP_3) | instskip(SKIP_1) | instid1(VALU_DEP_3)
	v_and_b32_e32 v9, 0xfffff, v9
	s_mov_b32 s0, exec_lo
	v_cndmask_b32_e64 v10, v10, 0xffffff82, vcc_lo
	s_delay_alu instid0(VALU_DEP_2) | instskip(SKIP_1) | instid1(VALU_DEP_3)
	v_add_co_u32 v7, vcc_lo, v9, v7
	v_add_co_ci_u32_e32 v8, vcc_lo, 0, v8, vcc_lo
	v_add3_u32 v10, v30, v10, v25
                                        ; implicit-def: $vgpr9
	s_delay_alu instid0(VALU_DEP_1) | instskip(NEXT) | instid1(VALU_DEP_1)
	v_add_nc_u32_e32 v25, 6, v10
	v_cmpx_ne_u32_e32 0, v25
	s_xor_b32 s0, exec_lo, s0
; %bb.253:
	v_cmp_lt_u64_e32 vcc_lo, 0xffffff, v[7:8]
	v_add_nc_u32_e32 v9, 7, v10
	v_cndmask_b32_e64 v10, 0, 1, vcc_lo
	s_delay_alu instid0(VALU_DEP_2) | instskip(NEXT) | instid1(VALU_DEP_2)
	v_cndmask_b32_e32 v9, v25, v9, vcc_lo
	v_lshrrev_b64 v[7:8], v10, v[7:8]
; %bb.254:
	s_and_not1_saveexec_b32 s0, s0
; %bb.255:
	s_delay_alu instid0(VALU_DEP_1)
	v_bfe_u32 v9, v7, 23, 1
; %bb.256:
	s_or_b32 exec_lo, exec_lo, s0
	s_delay_alu instid0(VALU_DEP_2) | instskip(NEXT) | instid1(VALU_DEP_2)
	v_lshrrev_b64 v[7:8], 20, v[7:8]
	v_cmp_gt_i32_e32 vcc_lo, 16, v9
	v_cmp_ne_u32_e64 s0, 0, v9
                                        ; implicit-def: $vgpr25
	s_delay_alu instid0(VALU_DEP_3) | instskip(NEXT) | instid1(VALU_DEP_1)
	v_dual_cndmask_b32 v8, 0, v8 :: v_dual_cndmask_b32 v7, 7, v7
	v_cmp_ne_u64_e32 vcc_lo, 0, v[7:8]
	s_delay_alu instid0(VALU_DEP_3) | instskip(NEXT) | instid1(SALU_CYCLE_1)
	s_or_b32 s0, s0, vcc_lo
	s_and_saveexec_b32 s5, s0
	s_delay_alu instid0(SALU_CYCLE_1)
	s_xor_b32 s0, exec_lo, s5
; %bb.257:
	v_min_i32_e32 v8, 15, v9
	s_delay_alu instid0(VALU_DEP_1) | instskip(NEXT) | instid1(VALU_DEP_1)
	v_lshl_or_b32 v8, v8, 3, v29
                                        ; implicit-def: $vgpr29
	v_and_or_b32 v25, v7, 7, v8
; %bb.258:
	s_and_not1_saveexec_b32 s0, s0
; %bb.259:
	v_mov_b32_e32 v25, v29
; %bb.260:
	s_or_b32 exec_lo, exec_lo, s0
.LBB8_261:
	s_delay_alu instid0(SALU_CYCLE_1)
	s_or_b32 exec_lo, exec_lo, s4
.LBB8_262:
	s_and_not1_saveexec_b32 s0, s3
	s_delay_alu instid0(SALU_CYCLE_1)
	s_or_b32 exec_lo, exec_lo, s0
                                        ; implicit-def: $vgpr10
                                        ; implicit-def: $vgpr7_vgpr8
.LBB8_263:
	s_and_not1_saveexec_b32 s0, s2
; %bb.264:
	v_cmp_eq_u64_e32 vcc_lo, 0, v[7:8]
	v_or_b32_e32 v9, 0x7f, v10
	s_delay_alu instid0(VALU_DEP_1)
	v_cndmask_b32_e32 v25, v9, v25, vcc_lo
; %bb.265:
	s_or_b32 exec_lo, exec_lo, s0
	v_dual_mul_f32 v7, v14, v24 :: v_dual_mov_b32 v8, 0
	s_mov_b32 s0, 0xc3e00000
	s_delay_alu instid0(VALU_DEP_1) | instid1(SALU_CYCLE_1)
	v_maxmin_f32 v9, v7, s0, 0x43e00000
	s_mov_b32 s0, exec_lo
	s_delay_alu instid0(VALU_DEP_2) | instskip(NEXT) | instid1(VALU_DEP_2)
	v_mov_b32_e32 v31, v8
	v_lshrrev_b32_e32 v10, 24, v9
	v_and_b32_e32 v30, 0x7f800000, v9
	v_and_b32_e32 v7, 0x7fffff, v9
	s_delay_alu instid0(VALU_DEP_3) | instskip(NEXT) | instid1(VALU_DEP_1)
	v_and_b32_e32 v29, 0x80, v10
	v_or_b32_e32 v24, 0x7e, v29
	s_delay_alu instid0(VALU_DEP_4)
	v_cmpx_ne_u64_e32 0x7f800000, v[30:31]
	s_xor_b32 s2, exec_lo, s0
	s_cbranch_execz .LBB8_281
; %bb.266:
	v_dual_mov_b32 v31, v8 :: v_dual_and_b32 v30, 0x7fffffff, v9
	s_mov_b32 s0, exec_lo
	s_delay_alu instid0(VALU_DEP_1)
	v_cmpx_gt_u64_e32 0x43e00001, v[30:31]
	s_xor_b32 s3, exec_lo, s0
	s_cbranch_execz .LBB8_280
; %bb.267:
	v_mov_b32_e32 v24, 0
	s_mov_b32 s4, exec_lo
	v_cmpx_ne_u32_e32 0, v9
	s_cbranch_execz .LBB8_279
; %bb.268:
	v_bfe_u32 v24, v9, 23, 8
	v_or_b32_e32 v31, 0x800000, v7
	s_delay_alu instid0(VALU_DEP_2) | instskip(SKIP_1) | instid1(VALU_DEP_2)
	v_sub_nc_u32_e32 v9, 0x79, v24
	v_cmp_gt_u32_e32 vcc_lo, 0x7a, v24
	v_cndmask_b32_e32 v9, 0, v9, vcc_lo
	v_cmp_eq_u32_e32 vcc_lo, 0, v24
	s_delay_alu instid0(VALU_DEP_2) | instskip(SKIP_1) | instid1(VALU_DEP_2)
	v_cndmask_b32_e64 v30, v9, 0x78, vcc_lo
	v_cndmask_b32_e32 v7, v31, v7, vcc_lo
	v_add_nc_u32_e32 v9, 20, v30
	v_add_nc_u32_e32 v31, 19, v30
	s_delay_alu instid0(VALU_DEP_2) | instskip(NEXT) | instid1(VALU_DEP_1)
	v_lshlrev_b64 v[9:10], v9, -1
	v_not_b32_e32 v33, v9
	s_delay_alu instid0(VALU_DEP_2) | instskip(NEXT) | instid1(VALU_DEP_4)
	v_not_b32_e32 v32, v10
	v_lshlrev_b64 v[9:10], v31, 1
	s_delay_alu instid0(VALU_DEP_3) | instskip(SKIP_1) | instid1(VALU_DEP_4)
	v_and_b32_e32 v31, v7, v33
	v_lshrrev_b64 v[7:8], v30, v[7:8]
	v_and_b32_e32 v32, 0, v32
	s_delay_alu instid0(VALU_DEP_1) | instskip(NEXT) | instid1(VALU_DEP_3)
	v_cmp_eq_u64_e64 s0, v[31:32], v[9:10]
	v_dual_mov_b32 v10, v8 :: v_dual_mov_b32 v9, v7
	s_delay_alu instid0(VALU_DEP_2)
	s_and_saveexec_b32 s5, s0
; %bb.269:
	v_bfe_u32 v9, v7, 20, 1
	s_delay_alu instid0(VALU_DEP_1) | instskip(NEXT) | instid1(VALU_DEP_1)
	v_add_co_u32 v9, s0, v7, v9
	v_add_co_u32 v9, s0, v9, -1
; %bb.270:
	s_or_b32 exec_lo, exec_lo, s5
	v_add_nc_u32_e32 v10, 0xffffff81, v24
	v_lshrrev_b32_e32 v24, 23, v7
	s_delay_alu instid0(VALU_DEP_3) | instskip(SKIP_1) | instid1(VALU_DEP_3)
	v_and_b32_e32 v9, 0xfffff, v9
	s_mov_b32 s0, exec_lo
	v_cndmask_b32_e64 v10, v10, 0xffffff82, vcc_lo
	s_delay_alu instid0(VALU_DEP_2) | instskip(SKIP_1) | instid1(VALU_DEP_3)
	v_add_co_u32 v7, vcc_lo, v9, v7
	v_add_co_ci_u32_e32 v8, vcc_lo, 0, v8, vcc_lo
	v_add3_u32 v10, v30, v10, v24
                                        ; implicit-def: $vgpr9
	s_delay_alu instid0(VALU_DEP_1) | instskip(NEXT) | instid1(VALU_DEP_1)
	v_add_nc_u32_e32 v24, 6, v10
	v_cmpx_ne_u32_e32 0, v24
	s_xor_b32 s0, exec_lo, s0
; %bb.271:
	v_cmp_lt_u64_e32 vcc_lo, 0xffffff, v[7:8]
	v_add_nc_u32_e32 v9, 7, v10
	v_cndmask_b32_e64 v10, 0, 1, vcc_lo
	s_delay_alu instid0(VALU_DEP_2) | instskip(NEXT) | instid1(VALU_DEP_2)
	v_cndmask_b32_e32 v9, v24, v9, vcc_lo
	v_lshrrev_b64 v[7:8], v10, v[7:8]
; %bb.272:
	s_and_not1_saveexec_b32 s0, s0
; %bb.273:
	s_delay_alu instid0(VALU_DEP_1)
	v_bfe_u32 v9, v7, 23, 1
; %bb.274:
	s_or_b32 exec_lo, exec_lo, s0
	s_delay_alu instid0(VALU_DEP_2) | instskip(NEXT) | instid1(VALU_DEP_2)
	v_lshrrev_b64 v[7:8], 20, v[7:8]
	v_cmp_gt_i32_e32 vcc_lo, 16, v9
	v_cmp_ne_u32_e64 s0, 0, v9
                                        ; implicit-def: $vgpr24
	s_delay_alu instid0(VALU_DEP_3) | instskip(NEXT) | instid1(VALU_DEP_1)
	v_dual_cndmask_b32 v8, 0, v8 :: v_dual_cndmask_b32 v7, 7, v7
	v_cmp_ne_u64_e32 vcc_lo, 0, v[7:8]
	s_delay_alu instid0(VALU_DEP_3) | instskip(NEXT) | instid1(SALU_CYCLE_1)
	s_or_b32 s0, s0, vcc_lo
	s_and_saveexec_b32 s5, s0
	s_delay_alu instid0(SALU_CYCLE_1)
	s_xor_b32 s0, exec_lo, s5
; %bb.275:
	v_min_i32_e32 v8, 15, v9
	s_delay_alu instid0(VALU_DEP_1) | instskip(NEXT) | instid1(VALU_DEP_1)
	v_lshl_or_b32 v8, v8, 3, v29
                                        ; implicit-def: $vgpr29
	v_and_or_b32 v24, v7, 7, v8
; %bb.276:
	s_and_not1_saveexec_b32 s0, s0
; %bb.277:
	v_mov_b32_e32 v24, v29
; %bb.278:
	s_or_b32 exec_lo, exec_lo, s0
.LBB8_279:
	s_delay_alu instid0(SALU_CYCLE_1)
	s_or_b32 exec_lo, exec_lo, s4
.LBB8_280:
	s_and_not1_saveexec_b32 s0, s3
	s_delay_alu instid0(SALU_CYCLE_1)
	s_or_b32 exec_lo, exec_lo, s0
                                        ; implicit-def: $vgpr10
                                        ; implicit-def: $vgpr7_vgpr8
.LBB8_281:
	s_and_not1_saveexec_b32 s0, s2
; %bb.282:
	v_cmp_eq_u64_e32 vcc_lo, 0, v[7:8]
	v_or_b32_e32 v9, 0x7f, v10
	s_delay_alu instid0(VALU_DEP_1)
	v_cndmask_b32_e32 v24, v9, v24, vcc_lo
; %bb.283:
	s_or_b32 exec_lo, exec_lo, s0
	v_dual_mul_f32 v7, v14, v23 :: v_dual_mov_b32 v8, 0
	s_mov_b32 s0, 0xc3e00000
	s_delay_alu instid0(VALU_DEP_1) | instid1(SALU_CYCLE_1)
	v_maxmin_f32 v9, v7, s0, 0x43e00000
	s_mov_b32 s0, exec_lo
	s_delay_alu instid0(VALU_DEP_2) | instskip(NEXT) | instid1(VALU_DEP_2)
	v_mov_b32_e32 v31, v8
	v_lshrrev_b32_e32 v10, 24, v9
	v_and_b32_e32 v30, 0x7f800000, v9
	v_and_b32_e32 v7, 0x7fffff, v9
	s_delay_alu instid0(VALU_DEP_3) | instskip(NEXT) | instid1(VALU_DEP_1)
	v_and_b32_e32 v29, 0x80, v10
	v_or_b32_e32 v23, 0x7e, v29
	s_delay_alu instid0(VALU_DEP_4)
	v_cmpx_ne_u64_e32 0x7f800000, v[30:31]
	s_xor_b32 s2, exec_lo, s0
	s_cbranch_execz .LBB8_299
; %bb.284:
	v_dual_mov_b32 v31, v8 :: v_dual_and_b32 v30, 0x7fffffff, v9
	s_mov_b32 s0, exec_lo
	s_delay_alu instid0(VALU_DEP_1)
	v_cmpx_gt_u64_e32 0x43e00001, v[30:31]
	s_xor_b32 s3, exec_lo, s0
	s_cbranch_execz .LBB8_298
; %bb.285:
	v_mov_b32_e32 v23, 0
	s_mov_b32 s4, exec_lo
	v_cmpx_ne_u32_e32 0, v9
	s_cbranch_execz .LBB8_297
; %bb.286:
	v_bfe_u32 v23, v9, 23, 8
	v_or_b32_e32 v31, 0x800000, v7
	s_delay_alu instid0(VALU_DEP_2) | instskip(SKIP_1) | instid1(VALU_DEP_2)
	v_sub_nc_u32_e32 v9, 0x79, v23
	v_cmp_gt_u32_e32 vcc_lo, 0x7a, v23
	v_cndmask_b32_e32 v9, 0, v9, vcc_lo
	v_cmp_eq_u32_e32 vcc_lo, 0, v23
	s_delay_alu instid0(VALU_DEP_2) | instskip(SKIP_1) | instid1(VALU_DEP_2)
	v_cndmask_b32_e64 v30, v9, 0x78, vcc_lo
	v_cndmask_b32_e32 v7, v31, v7, vcc_lo
	v_add_nc_u32_e32 v9, 20, v30
	v_add_nc_u32_e32 v31, 19, v30
	s_delay_alu instid0(VALU_DEP_2) | instskip(NEXT) | instid1(VALU_DEP_1)
	v_lshlrev_b64 v[9:10], v9, -1
	v_not_b32_e32 v33, v9
	s_delay_alu instid0(VALU_DEP_2) | instskip(NEXT) | instid1(VALU_DEP_4)
	v_not_b32_e32 v32, v10
	v_lshlrev_b64 v[9:10], v31, 1
	s_delay_alu instid0(VALU_DEP_3) | instskip(SKIP_1) | instid1(VALU_DEP_4)
	v_and_b32_e32 v31, v7, v33
	v_lshrrev_b64 v[7:8], v30, v[7:8]
	v_and_b32_e32 v32, 0, v32
	s_delay_alu instid0(VALU_DEP_1) | instskip(NEXT) | instid1(VALU_DEP_3)
	v_cmp_eq_u64_e64 s0, v[31:32], v[9:10]
	v_dual_mov_b32 v10, v8 :: v_dual_mov_b32 v9, v7
	s_delay_alu instid0(VALU_DEP_2)
	s_and_saveexec_b32 s5, s0
; %bb.287:
	v_bfe_u32 v9, v7, 20, 1
	s_delay_alu instid0(VALU_DEP_1) | instskip(NEXT) | instid1(VALU_DEP_1)
	v_add_co_u32 v9, s0, v7, v9
	v_add_co_u32 v9, s0, v9, -1
; %bb.288:
	s_or_b32 exec_lo, exec_lo, s5
	v_add_nc_u32_e32 v10, 0xffffff81, v23
	v_lshrrev_b32_e32 v23, 23, v7
	s_delay_alu instid0(VALU_DEP_3) | instskip(SKIP_1) | instid1(VALU_DEP_3)
	v_and_b32_e32 v9, 0xfffff, v9
	s_mov_b32 s0, exec_lo
	v_cndmask_b32_e64 v10, v10, 0xffffff82, vcc_lo
	s_delay_alu instid0(VALU_DEP_2) | instskip(SKIP_1) | instid1(VALU_DEP_3)
	v_add_co_u32 v7, vcc_lo, v9, v7
	v_add_co_ci_u32_e32 v8, vcc_lo, 0, v8, vcc_lo
	v_add3_u32 v10, v30, v10, v23
                                        ; implicit-def: $vgpr9
	s_delay_alu instid0(VALU_DEP_1) | instskip(NEXT) | instid1(VALU_DEP_1)
	v_add_nc_u32_e32 v23, 6, v10
	v_cmpx_ne_u32_e32 0, v23
	s_xor_b32 s0, exec_lo, s0
; %bb.289:
	v_cmp_lt_u64_e32 vcc_lo, 0xffffff, v[7:8]
	v_add_nc_u32_e32 v9, 7, v10
	v_cndmask_b32_e64 v10, 0, 1, vcc_lo
	s_delay_alu instid0(VALU_DEP_2) | instskip(NEXT) | instid1(VALU_DEP_2)
	v_cndmask_b32_e32 v9, v23, v9, vcc_lo
	v_lshrrev_b64 v[7:8], v10, v[7:8]
; %bb.290:
	s_and_not1_saveexec_b32 s0, s0
; %bb.291:
	s_delay_alu instid0(VALU_DEP_1)
	v_bfe_u32 v9, v7, 23, 1
; %bb.292:
	s_or_b32 exec_lo, exec_lo, s0
	s_delay_alu instid0(VALU_DEP_2) | instskip(NEXT) | instid1(VALU_DEP_2)
	v_lshrrev_b64 v[7:8], 20, v[7:8]
	v_cmp_gt_i32_e32 vcc_lo, 16, v9
	v_cmp_ne_u32_e64 s0, 0, v9
                                        ; implicit-def: $vgpr23
	s_delay_alu instid0(VALU_DEP_3) | instskip(NEXT) | instid1(VALU_DEP_1)
	v_dual_cndmask_b32 v8, 0, v8 :: v_dual_cndmask_b32 v7, 7, v7
	v_cmp_ne_u64_e32 vcc_lo, 0, v[7:8]
	s_delay_alu instid0(VALU_DEP_3) | instskip(NEXT) | instid1(SALU_CYCLE_1)
	s_or_b32 s0, s0, vcc_lo
	s_and_saveexec_b32 s5, s0
	s_delay_alu instid0(SALU_CYCLE_1)
	s_xor_b32 s0, exec_lo, s5
; %bb.293:
	v_min_i32_e32 v8, 15, v9
	s_delay_alu instid0(VALU_DEP_1) | instskip(NEXT) | instid1(VALU_DEP_1)
	v_lshl_or_b32 v8, v8, 3, v29
                                        ; implicit-def: $vgpr29
	v_and_or_b32 v23, v7, 7, v8
; %bb.294:
	s_and_not1_saveexec_b32 s0, s0
; %bb.295:
	v_mov_b32_e32 v23, v29
; %bb.296:
	s_or_b32 exec_lo, exec_lo, s0
.LBB8_297:
	s_delay_alu instid0(SALU_CYCLE_1)
	s_or_b32 exec_lo, exec_lo, s4
.LBB8_298:
	s_and_not1_saveexec_b32 s0, s3
	s_delay_alu instid0(SALU_CYCLE_1)
	s_or_b32 exec_lo, exec_lo, s0
                                        ; implicit-def: $vgpr10
                                        ; implicit-def: $vgpr7_vgpr8
.LBB8_299:
	s_and_not1_saveexec_b32 s0, s2
; %bb.300:
	v_cmp_eq_u64_e32 vcc_lo, 0, v[7:8]
	v_or_b32_e32 v9, 0x7f, v10
	s_delay_alu instid0(VALU_DEP_1)
	v_cndmask_b32_e32 v23, v9, v23, vcc_lo
; %bb.301:
	s_or_b32 exec_lo, exec_lo, s0
	v_dual_mul_f32 v7, v14, v22 :: v_dual_mov_b32 v8, 0
	s_mov_b32 s0, 0xc3e00000
	s_delay_alu instid0(VALU_DEP_1) | instid1(SALU_CYCLE_1)
	v_maxmin_f32 v9, v7, s0, 0x43e00000
	s_mov_b32 s0, exec_lo
	s_delay_alu instid0(VALU_DEP_2) | instskip(NEXT) | instid1(VALU_DEP_2)
	v_mov_b32_e32 v31, v8
	v_lshrrev_b32_e32 v10, 24, v9
	v_and_b32_e32 v30, 0x7f800000, v9
	v_and_b32_e32 v7, 0x7fffff, v9
	s_delay_alu instid0(VALU_DEP_3) | instskip(NEXT) | instid1(VALU_DEP_1)
	v_and_b32_e32 v29, 0x80, v10
	v_or_b32_e32 v22, 0x7e, v29
	s_delay_alu instid0(VALU_DEP_4)
	v_cmpx_ne_u64_e32 0x7f800000, v[30:31]
	s_xor_b32 s2, exec_lo, s0
	s_cbranch_execz .LBB8_317
; %bb.302:
	v_dual_mov_b32 v31, v8 :: v_dual_and_b32 v30, 0x7fffffff, v9
	s_mov_b32 s0, exec_lo
	s_delay_alu instid0(VALU_DEP_1)
	v_cmpx_gt_u64_e32 0x43e00001, v[30:31]
	s_xor_b32 s3, exec_lo, s0
	s_cbranch_execz .LBB8_316
; %bb.303:
	v_mov_b32_e32 v22, 0
	s_mov_b32 s4, exec_lo
	v_cmpx_ne_u32_e32 0, v9
	s_cbranch_execz .LBB8_315
; %bb.304:
	v_bfe_u32 v22, v9, 23, 8
	v_or_b32_e32 v31, 0x800000, v7
	s_delay_alu instid0(VALU_DEP_2) | instskip(SKIP_1) | instid1(VALU_DEP_2)
	v_sub_nc_u32_e32 v9, 0x79, v22
	v_cmp_gt_u32_e32 vcc_lo, 0x7a, v22
	v_cndmask_b32_e32 v9, 0, v9, vcc_lo
	v_cmp_eq_u32_e32 vcc_lo, 0, v22
	s_delay_alu instid0(VALU_DEP_2) | instskip(SKIP_1) | instid1(VALU_DEP_2)
	v_cndmask_b32_e64 v30, v9, 0x78, vcc_lo
	v_cndmask_b32_e32 v7, v31, v7, vcc_lo
	v_add_nc_u32_e32 v9, 20, v30
	v_add_nc_u32_e32 v31, 19, v30
	s_delay_alu instid0(VALU_DEP_2) | instskip(NEXT) | instid1(VALU_DEP_1)
	v_lshlrev_b64 v[9:10], v9, -1
	v_not_b32_e32 v33, v9
	s_delay_alu instid0(VALU_DEP_2) | instskip(NEXT) | instid1(VALU_DEP_4)
	v_not_b32_e32 v32, v10
	v_lshlrev_b64 v[9:10], v31, 1
	s_delay_alu instid0(VALU_DEP_3) | instskip(SKIP_1) | instid1(VALU_DEP_4)
	v_and_b32_e32 v31, v7, v33
	v_lshrrev_b64 v[7:8], v30, v[7:8]
	v_and_b32_e32 v32, 0, v32
	s_delay_alu instid0(VALU_DEP_1) | instskip(NEXT) | instid1(VALU_DEP_3)
	v_cmp_eq_u64_e64 s0, v[31:32], v[9:10]
	v_dual_mov_b32 v10, v8 :: v_dual_mov_b32 v9, v7
	s_delay_alu instid0(VALU_DEP_2)
	s_and_saveexec_b32 s5, s0
; %bb.305:
	v_bfe_u32 v9, v7, 20, 1
	s_delay_alu instid0(VALU_DEP_1) | instskip(NEXT) | instid1(VALU_DEP_1)
	v_add_co_u32 v9, s0, v7, v9
	v_add_co_u32 v9, s0, v9, -1
; %bb.306:
	s_or_b32 exec_lo, exec_lo, s5
	v_add_nc_u32_e32 v10, 0xffffff81, v22
	v_lshrrev_b32_e32 v22, 23, v7
	s_delay_alu instid0(VALU_DEP_3) | instskip(SKIP_1) | instid1(VALU_DEP_3)
	v_and_b32_e32 v9, 0xfffff, v9
	s_mov_b32 s0, exec_lo
	v_cndmask_b32_e64 v10, v10, 0xffffff82, vcc_lo
	s_delay_alu instid0(VALU_DEP_2) | instskip(SKIP_1) | instid1(VALU_DEP_3)
	v_add_co_u32 v7, vcc_lo, v9, v7
	v_add_co_ci_u32_e32 v8, vcc_lo, 0, v8, vcc_lo
	v_add3_u32 v10, v30, v10, v22
                                        ; implicit-def: $vgpr9
	s_delay_alu instid0(VALU_DEP_1) | instskip(NEXT) | instid1(VALU_DEP_1)
	v_add_nc_u32_e32 v22, 6, v10
	v_cmpx_ne_u32_e32 0, v22
	s_xor_b32 s0, exec_lo, s0
; %bb.307:
	v_cmp_lt_u64_e32 vcc_lo, 0xffffff, v[7:8]
	v_add_nc_u32_e32 v9, 7, v10
	v_cndmask_b32_e64 v10, 0, 1, vcc_lo
	s_delay_alu instid0(VALU_DEP_2) | instskip(NEXT) | instid1(VALU_DEP_2)
	v_cndmask_b32_e32 v9, v22, v9, vcc_lo
	v_lshrrev_b64 v[7:8], v10, v[7:8]
; %bb.308:
	s_and_not1_saveexec_b32 s0, s0
; %bb.309:
	s_delay_alu instid0(VALU_DEP_1)
	v_bfe_u32 v9, v7, 23, 1
; %bb.310:
	s_or_b32 exec_lo, exec_lo, s0
	s_delay_alu instid0(VALU_DEP_2) | instskip(NEXT) | instid1(VALU_DEP_2)
	v_lshrrev_b64 v[7:8], 20, v[7:8]
	v_cmp_gt_i32_e32 vcc_lo, 16, v9
	v_cmp_ne_u32_e64 s0, 0, v9
                                        ; implicit-def: $vgpr22
	s_delay_alu instid0(VALU_DEP_3) | instskip(NEXT) | instid1(VALU_DEP_1)
	v_dual_cndmask_b32 v8, 0, v8 :: v_dual_cndmask_b32 v7, 7, v7
	v_cmp_ne_u64_e32 vcc_lo, 0, v[7:8]
	s_delay_alu instid0(VALU_DEP_3) | instskip(NEXT) | instid1(SALU_CYCLE_1)
	s_or_b32 s0, s0, vcc_lo
	s_and_saveexec_b32 s5, s0
	s_delay_alu instid0(SALU_CYCLE_1)
	s_xor_b32 s0, exec_lo, s5
; %bb.311:
	v_min_i32_e32 v8, 15, v9
	s_delay_alu instid0(VALU_DEP_1) | instskip(NEXT) | instid1(VALU_DEP_1)
	v_lshl_or_b32 v8, v8, 3, v29
                                        ; implicit-def: $vgpr29
	v_and_or_b32 v22, v7, 7, v8
; %bb.312:
	s_and_not1_saveexec_b32 s0, s0
; %bb.313:
	v_mov_b32_e32 v22, v29
; %bb.314:
	s_or_b32 exec_lo, exec_lo, s0
.LBB8_315:
	s_delay_alu instid0(SALU_CYCLE_1)
	s_or_b32 exec_lo, exec_lo, s4
.LBB8_316:
	s_and_not1_saveexec_b32 s0, s3
	s_delay_alu instid0(SALU_CYCLE_1)
	s_or_b32 exec_lo, exec_lo, s0
                                        ; implicit-def: $vgpr10
                                        ; implicit-def: $vgpr7_vgpr8
.LBB8_317:
	s_and_not1_saveexec_b32 s0, s2
; %bb.318:
	v_cmp_eq_u64_e32 vcc_lo, 0, v[7:8]
	v_or_b32_e32 v9, 0x7f, v10
	s_delay_alu instid0(VALU_DEP_1)
	v_cndmask_b32_e32 v22, v9, v22, vcc_lo
; %bb.319:
	s_or_b32 exec_lo, exec_lo, s0
	v_dual_mul_f32 v7, v14, v21 :: v_dual_mov_b32 v8, 0
	s_mov_b32 s0, 0xc3e00000
	s_delay_alu instid0(VALU_DEP_1) | instid1(SALU_CYCLE_1)
	v_maxmin_f32 v9, v7, s0, 0x43e00000
	s_mov_b32 s0, exec_lo
	s_delay_alu instid0(VALU_DEP_2) | instskip(NEXT) | instid1(VALU_DEP_2)
	v_mov_b32_e32 v31, v8
	v_lshrrev_b32_e32 v10, 24, v9
	v_and_b32_e32 v30, 0x7f800000, v9
	v_and_b32_e32 v7, 0x7fffff, v9
	s_delay_alu instid0(VALU_DEP_3) | instskip(NEXT) | instid1(VALU_DEP_1)
	v_and_b32_e32 v29, 0x80, v10
	v_or_b32_e32 v21, 0x7e, v29
	s_delay_alu instid0(VALU_DEP_4)
	v_cmpx_ne_u64_e32 0x7f800000, v[30:31]
	s_xor_b32 s2, exec_lo, s0
	s_cbranch_execz .LBB8_335
; %bb.320:
	v_dual_mov_b32 v31, v8 :: v_dual_and_b32 v30, 0x7fffffff, v9
	s_mov_b32 s0, exec_lo
	s_delay_alu instid0(VALU_DEP_1)
	v_cmpx_gt_u64_e32 0x43e00001, v[30:31]
	s_xor_b32 s3, exec_lo, s0
	s_cbranch_execz .LBB8_334
; %bb.321:
	v_mov_b32_e32 v21, 0
	s_mov_b32 s4, exec_lo
	v_cmpx_ne_u32_e32 0, v9
	s_cbranch_execz .LBB8_333
; %bb.322:
	v_bfe_u32 v21, v9, 23, 8
	v_or_b32_e32 v31, 0x800000, v7
	s_delay_alu instid0(VALU_DEP_2) | instskip(SKIP_1) | instid1(VALU_DEP_2)
	v_sub_nc_u32_e32 v9, 0x79, v21
	v_cmp_gt_u32_e32 vcc_lo, 0x7a, v21
	v_cndmask_b32_e32 v9, 0, v9, vcc_lo
	v_cmp_eq_u32_e32 vcc_lo, 0, v21
	s_delay_alu instid0(VALU_DEP_2) | instskip(SKIP_1) | instid1(VALU_DEP_2)
	v_cndmask_b32_e64 v30, v9, 0x78, vcc_lo
	v_cndmask_b32_e32 v7, v31, v7, vcc_lo
	v_add_nc_u32_e32 v9, 20, v30
	v_add_nc_u32_e32 v31, 19, v30
	s_delay_alu instid0(VALU_DEP_2) | instskip(NEXT) | instid1(VALU_DEP_1)
	v_lshlrev_b64 v[9:10], v9, -1
	v_not_b32_e32 v33, v9
	s_delay_alu instid0(VALU_DEP_2) | instskip(NEXT) | instid1(VALU_DEP_4)
	v_not_b32_e32 v32, v10
	v_lshlrev_b64 v[9:10], v31, 1
	s_delay_alu instid0(VALU_DEP_3) | instskip(SKIP_1) | instid1(VALU_DEP_4)
	v_and_b32_e32 v31, v7, v33
	v_lshrrev_b64 v[7:8], v30, v[7:8]
	v_and_b32_e32 v32, 0, v32
	s_delay_alu instid0(VALU_DEP_1) | instskip(NEXT) | instid1(VALU_DEP_3)
	v_cmp_eq_u64_e64 s0, v[31:32], v[9:10]
	v_dual_mov_b32 v10, v8 :: v_dual_mov_b32 v9, v7
	s_delay_alu instid0(VALU_DEP_2)
	s_and_saveexec_b32 s5, s0
; %bb.323:
	v_bfe_u32 v9, v7, 20, 1
	s_delay_alu instid0(VALU_DEP_1) | instskip(NEXT) | instid1(VALU_DEP_1)
	v_add_co_u32 v9, s0, v7, v9
	v_add_co_u32 v9, s0, v9, -1
; %bb.324:
	s_or_b32 exec_lo, exec_lo, s5
	v_add_nc_u32_e32 v10, 0xffffff81, v21
	v_lshrrev_b32_e32 v21, 23, v7
	s_delay_alu instid0(VALU_DEP_3) | instskip(SKIP_1) | instid1(VALU_DEP_3)
	v_and_b32_e32 v9, 0xfffff, v9
	s_mov_b32 s0, exec_lo
	v_cndmask_b32_e64 v10, v10, 0xffffff82, vcc_lo
	s_delay_alu instid0(VALU_DEP_2) | instskip(SKIP_1) | instid1(VALU_DEP_3)
	v_add_co_u32 v7, vcc_lo, v9, v7
	v_add_co_ci_u32_e32 v8, vcc_lo, 0, v8, vcc_lo
	v_add3_u32 v10, v30, v10, v21
                                        ; implicit-def: $vgpr9
	s_delay_alu instid0(VALU_DEP_1) | instskip(NEXT) | instid1(VALU_DEP_1)
	v_add_nc_u32_e32 v21, 6, v10
	v_cmpx_ne_u32_e32 0, v21
	s_xor_b32 s0, exec_lo, s0
; %bb.325:
	v_cmp_lt_u64_e32 vcc_lo, 0xffffff, v[7:8]
	v_add_nc_u32_e32 v9, 7, v10
	v_cndmask_b32_e64 v10, 0, 1, vcc_lo
	s_delay_alu instid0(VALU_DEP_2) | instskip(NEXT) | instid1(VALU_DEP_2)
	v_cndmask_b32_e32 v9, v21, v9, vcc_lo
	v_lshrrev_b64 v[7:8], v10, v[7:8]
; %bb.326:
	s_and_not1_saveexec_b32 s0, s0
; %bb.327:
	s_delay_alu instid0(VALU_DEP_1)
	v_bfe_u32 v9, v7, 23, 1
; %bb.328:
	s_or_b32 exec_lo, exec_lo, s0
	s_delay_alu instid0(VALU_DEP_2) | instskip(NEXT) | instid1(VALU_DEP_2)
	v_lshrrev_b64 v[7:8], 20, v[7:8]
	v_cmp_gt_i32_e32 vcc_lo, 16, v9
	v_cmp_ne_u32_e64 s0, 0, v9
                                        ; implicit-def: $vgpr21
	s_delay_alu instid0(VALU_DEP_3) | instskip(NEXT) | instid1(VALU_DEP_1)
	v_dual_cndmask_b32 v8, 0, v8 :: v_dual_cndmask_b32 v7, 7, v7
	v_cmp_ne_u64_e32 vcc_lo, 0, v[7:8]
	s_delay_alu instid0(VALU_DEP_3) | instskip(NEXT) | instid1(SALU_CYCLE_1)
	s_or_b32 s0, s0, vcc_lo
	s_and_saveexec_b32 s5, s0
	s_delay_alu instid0(SALU_CYCLE_1)
	s_xor_b32 s0, exec_lo, s5
; %bb.329:
	v_min_i32_e32 v8, 15, v9
	s_delay_alu instid0(VALU_DEP_1) | instskip(NEXT) | instid1(VALU_DEP_1)
	v_lshl_or_b32 v8, v8, 3, v29
                                        ; implicit-def: $vgpr29
	v_and_or_b32 v21, v7, 7, v8
; %bb.330:
	s_and_not1_saveexec_b32 s0, s0
; %bb.331:
	v_mov_b32_e32 v21, v29
; %bb.332:
	s_or_b32 exec_lo, exec_lo, s0
.LBB8_333:
	s_delay_alu instid0(SALU_CYCLE_1)
	s_or_b32 exec_lo, exec_lo, s4
.LBB8_334:
	s_and_not1_saveexec_b32 s0, s3
	s_delay_alu instid0(SALU_CYCLE_1)
	s_or_b32 exec_lo, exec_lo, s0
                                        ; implicit-def: $vgpr10
                                        ; implicit-def: $vgpr7_vgpr8
.LBB8_335:
	s_and_not1_saveexec_b32 s0, s2
; %bb.336:
	v_cmp_eq_u64_e32 vcc_lo, 0, v[7:8]
	v_or_b32_e32 v9, 0x7f, v10
	s_delay_alu instid0(VALU_DEP_1)
	v_cndmask_b32_e32 v21, v9, v21, vcc_lo
; %bb.337:
	s_or_b32 exec_lo, exec_lo, s0
	v_dual_mul_f32 v7, v14, v16 :: v_dual_mov_b32 v8, 0
	s_mov_b32 s0, 0xc3e00000
	s_delay_alu instid0(VALU_DEP_1) | instid1(SALU_CYCLE_1)
	v_maxmin_f32 v9, v7, s0, 0x43e00000
	s_mov_b32 s0, exec_lo
	s_delay_alu instid0(VALU_DEP_2) | instskip(NEXT) | instid1(VALU_DEP_2)
	v_mov_b32_e32 v31, v8
	v_lshrrev_b32_e32 v10, 24, v9
	v_and_b32_e32 v30, 0x7f800000, v9
	v_and_b32_e32 v7, 0x7fffff, v9
	s_delay_alu instid0(VALU_DEP_3) | instskip(NEXT) | instid1(VALU_DEP_1)
	v_and_b32_e32 v29, 0x80, v10
	v_or_b32_e32 v16, 0x7e, v29
	s_delay_alu instid0(VALU_DEP_4)
	v_cmpx_ne_u64_e32 0x7f800000, v[30:31]
	s_xor_b32 s2, exec_lo, s0
	s_cbranch_execz .LBB8_353
; %bb.338:
	v_dual_mov_b32 v31, v8 :: v_dual_and_b32 v30, 0x7fffffff, v9
	s_mov_b32 s0, exec_lo
	s_delay_alu instid0(VALU_DEP_1)
	v_cmpx_gt_u64_e32 0x43e00001, v[30:31]
	s_xor_b32 s3, exec_lo, s0
	s_cbranch_execz .LBB8_352
; %bb.339:
	v_mov_b32_e32 v16, 0
	s_mov_b32 s4, exec_lo
	v_cmpx_ne_u32_e32 0, v9
	s_cbranch_execz .LBB8_351
; %bb.340:
	v_bfe_u32 v16, v9, 23, 8
	v_or_b32_e32 v31, 0x800000, v7
	s_delay_alu instid0(VALU_DEP_2) | instskip(SKIP_1) | instid1(VALU_DEP_2)
	v_sub_nc_u32_e32 v9, 0x79, v16
	v_cmp_gt_u32_e32 vcc_lo, 0x7a, v16
	v_cndmask_b32_e32 v9, 0, v9, vcc_lo
	v_cmp_eq_u32_e32 vcc_lo, 0, v16
	s_delay_alu instid0(VALU_DEP_2) | instskip(SKIP_1) | instid1(VALU_DEP_2)
	v_cndmask_b32_e64 v30, v9, 0x78, vcc_lo
	v_cndmask_b32_e32 v7, v31, v7, vcc_lo
	v_add_nc_u32_e32 v9, 20, v30
	v_add_nc_u32_e32 v31, 19, v30
	s_delay_alu instid0(VALU_DEP_2) | instskip(NEXT) | instid1(VALU_DEP_1)
	v_lshlrev_b64 v[9:10], v9, -1
	v_not_b32_e32 v33, v9
	s_delay_alu instid0(VALU_DEP_2) | instskip(NEXT) | instid1(VALU_DEP_4)
	v_not_b32_e32 v32, v10
	v_lshlrev_b64 v[9:10], v31, 1
	s_delay_alu instid0(VALU_DEP_3) | instskip(SKIP_1) | instid1(VALU_DEP_4)
	v_and_b32_e32 v31, v7, v33
	v_lshrrev_b64 v[7:8], v30, v[7:8]
	v_and_b32_e32 v32, 0, v32
	s_delay_alu instid0(VALU_DEP_1) | instskip(NEXT) | instid1(VALU_DEP_3)
	v_cmp_eq_u64_e64 s0, v[31:32], v[9:10]
	v_dual_mov_b32 v10, v8 :: v_dual_mov_b32 v9, v7
	s_delay_alu instid0(VALU_DEP_2)
	s_and_saveexec_b32 s5, s0
; %bb.341:
	v_bfe_u32 v9, v7, 20, 1
	s_delay_alu instid0(VALU_DEP_1) | instskip(NEXT) | instid1(VALU_DEP_1)
	v_add_co_u32 v9, s0, v7, v9
	v_add_co_u32 v9, s0, v9, -1
; %bb.342:
	s_or_b32 exec_lo, exec_lo, s5
	v_add_nc_u32_e32 v10, 0xffffff81, v16
	v_lshrrev_b32_e32 v16, 23, v7
	s_delay_alu instid0(VALU_DEP_3) | instskip(SKIP_1) | instid1(VALU_DEP_3)
	v_and_b32_e32 v9, 0xfffff, v9
	s_mov_b32 s0, exec_lo
	v_cndmask_b32_e64 v10, v10, 0xffffff82, vcc_lo
	s_delay_alu instid0(VALU_DEP_2) | instskip(SKIP_1) | instid1(VALU_DEP_3)
	v_add_co_u32 v7, vcc_lo, v9, v7
	v_add_co_ci_u32_e32 v8, vcc_lo, 0, v8, vcc_lo
	v_add3_u32 v10, v30, v10, v16
                                        ; implicit-def: $vgpr9
	s_delay_alu instid0(VALU_DEP_1) | instskip(NEXT) | instid1(VALU_DEP_1)
	v_add_nc_u32_e32 v16, 6, v10
	v_cmpx_ne_u32_e32 0, v16
	s_xor_b32 s0, exec_lo, s0
; %bb.343:
	v_cmp_lt_u64_e32 vcc_lo, 0xffffff, v[7:8]
	v_add_nc_u32_e32 v9, 7, v10
	v_cndmask_b32_e64 v10, 0, 1, vcc_lo
	s_delay_alu instid0(VALU_DEP_2) | instskip(NEXT) | instid1(VALU_DEP_2)
	v_cndmask_b32_e32 v9, v16, v9, vcc_lo
	v_lshrrev_b64 v[7:8], v10, v[7:8]
; %bb.344:
	s_and_not1_saveexec_b32 s0, s0
; %bb.345:
	s_delay_alu instid0(VALU_DEP_1)
	v_bfe_u32 v9, v7, 23, 1
; %bb.346:
	s_or_b32 exec_lo, exec_lo, s0
	s_delay_alu instid0(VALU_DEP_2) | instskip(NEXT) | instid1(VALU_DEP_2)
	v_lshrrev_b64 v[7:8], 20, v[7:8]
	v_cmp_gt_i32_e32 vcc_lo, 16, v9
	v_cmp_ne_u32_e64 s0, 0, v9
                                        ; implicit-def: $vgpr16
	s_delay_alu instid0(VALU_DEP_3) | instskip(NEXT) | instid1(VALU_DEP_1)
	v_dual_cndmask_b32 v8, 0, v8 :: v_dual_cndmask_b32 v7, 7, v7
	v_cmp_ne_u64_e32 vcc_lo, 0, v[7:8]
	s_delay_alu instid0(VALU_DEP_3) | instskip(NEXT) | instid1(SALU_CYCLE_1)
	s_or_b32 s0, s0, vcc_lo
	s_and_saveexec_b32 s5, s0
	s_delay_alu instid0(SALU_CYCLE_1)
	s_xor_b32 s0, exec_lo, s5
; %bb.347:
	v_min_i32_e32 v8, 15, v9
	s_delay_alu instid0(VALU_DEP_1) | instskip(NEXT) | instid1(VALU_DEP_1)
	v_lshl_or_b32 v8, v8, 3, v29
                                        ; implicit-def: $vgpr29
	v_and_or_b32 v16, v7, 7, v8
; %bb.348:
	s_and_not1_saveexec_b32 s0, s0
; %bb.349:
	v_mov_b32_e32 v16, v29
; %bb.350:
	s_or_b32 exec_lo, exec_lo, s0
.LBB8_351:
	s_delay_alu instid0(SALU_CYCLE_1)
	s_or_b32 exec_lo, exec_lo, s4
.LBB8_352:
	s_and_not1_saveexec_b32 s0, s3
	s_delay_alu instid0(SALU_CYCLE_1)
	s_or_b32 exec_lo, exec_lo, s0
                                        ; implicit-def: $vgpr10
                                        ; implicit-def: $vgpr7_vgpr8
.LBB8_353:
	s_and_not1_saveexec_b32 s0, s2
; %bb.354:
	v_cmp_eq_u64_e32 vcc_lo, 0, v[7:8]
	v_or_b32_e32 v9, 0x7f, v10
	s_delay_alu instid0(VALU_DEP_1)
	v_cndmask_b32_e32 v16, v9, v16, vcc_lo
; %bb.355:
	s_or_b32 exec_lo, exec_lo, s0
	v_dual_mul_f32 v7, v14, v13 :: v_dual_mov_b32 v8, 0
	s_mov_b32 s0, 0xc3e00000
	s_delay_alu instid0(VALU_DEP_1) | instid1(SALU_CYCLE_1)
	v_maxmin_f32 v10, v7, s0, 0x43e00000
	s_mov_b32 s0, exec_lo
	s_delay_alu instid0(VALU_DEP_2) | instskip(NEXT) | instid1(VALU_DEP_2)
	v_mov_b32_e32 v30, v8
	v_lshrrev_b32_e32 v14, 24, v10
	v_and_b32_e32 v29, 0x7f800000, v10
	v_and_b32_e32 v7, 0x7fffff, v10
	s_delay_alu instid0(VALU_DEP_3) | instskip(NEXT) | instid1(VALU_DEP_1)
	v_and_b32_e32 v13, 0x80, v14
	v_or_b32_e32 v9, 0x7e, v13
	s_delay_alu instid0(VALU_DEP_4)
	v_cmpx_ne_u64_e32 0x7f800000, v[29:30]
	s_xor_b32 s2, exec_lo, s0
	s_cbranch_execz .LBB8_371
; %bb.356:
	v_dual_mov_b32 v30, v8 :: v_dual_and_b32 v29, 0x7fffffff, v10
	s_mov_b32 s0, exec_lo
	s_delay_alu instid0(VALU_DEP_1)
	v_cmpx_gt_u64_e32 0x43e00001, v[29:30]
	s_xor_b32 s3, exec_lo, s0
	s_cbranch_execz .LBB8_370
; %bb.357:
	v_mov_b32_e32 v9, 0
	s_mov_b32 s4, exec_lo
	v_cmpx_ne_u32_e32 0, v10
	s_cbranch_execz .LBB8_369
; %bb.358:
	v_bfe_u32 v14, v10, 23, 8
	v_or_b32_e32 v30, 0x800000, v7
	s_delay_alu instid0(VALU_DEP_2) | instskip(SKIP_1) | instid1(VALU_DEP_2)
	v_sub_nc_u32_e32 v9, 0x79, v14
	v_cmp_gt_u32_e32 vcc_lo, 0x7a, v14
	v_cndmask_b32_e32 v9, 0, v9, vcc_lo
	v_cmp_eq_u32_e32 vcc_lo, 0, v14
	s_delay_alu instid0(VALU_DEP_2) | instskip(NEXT) | instid1(VALU_DEP_1)
	v_cndmask_b32_e64 v29, v9, 0x78, vcc_lo
	v_dual_cndmask_b32 v7, v30, v7 :: v_dual_add_nc_u32 v30, 19, v29
	v_add_nc_u32_e32 v9, 20, v29
	s_delay_alu instid0(VALU_DEP_1) | instskip(NEXT) | instid1(VALU_DEP_1)
	v_lshlrev_b64 v[9:10], v9, -1
	v_not_b32_e32 v32, v9
	s_delay_alu instid0(VALU_DEP_2) | instskip(SKIP_1) | instid1(VALU_DEP_3)
	v_not_b32_e32 v31, v10
	v_lshlrev_b64 v[9:10], v30, 1
	v_and_b32_e32 v30, v7, v32
	v_lshrrev_b64 v[7:8], v29, v[7:8]
	s_delay_alu instid0(VALU_DEP_4) | instskip(NEXT) | instid1(VALU_DEP_1)
	v_and_b32_e32 v31, 0, v31
	v_cmp_eq_u64_e64 s0, v[30:31], v[9:10]
	s_delay_alu instid0(VALU_DEP_3) | instskip(NEXT) | instid1(VALU_DEP_2)
	v_dual_mov_b32 v10, v8 :: v_dual_mov_b32 v9, v7
	s_and_saveexec_b32 s5, s0
; %bb.359:
	v_bfe_u32 v9, v7, 20, 1
	s_delay_alu instid0(VALU_DEP_1) | instskip(NEXT) | instid1(VALU_DEP_1)
	v_add_co_u32 v9, s0, v7, v9
	v_add_co_u32 v9, s0, v9, -1
; %bb.360:
	s_or_b32 exec_lo, exec_lo, s5
	v_add_nc_u32_e32 v10, 0xffffff81, v14
	v_lshrrev_b32_e32 v14, 23, v7
	s_mov_b32 s0, exec_lo
	s_delay_alu instid0(VALU_DEP_2) | instskip(NEXT) | instid1(VALU_DEP_1)
	v_cndmask_b32_e64 v10, v10, 0xffffff82, vcc_lo
	v_add3_u32 v14, v29, v10, v14
	v_and_b32_e32 v10, 0xfffff, v9
	s_delay_alu instid0(VALU_DEP_2) | instskip(NEXT) | instid1(VALU_DEP_2)
	v_add_nc_u32_e32 v9, 6, v14
	v_add_co_u32 v7, vcc_lo, v10, v7
	v_add_co_ci_u32_e32 v8, vcc_lo, 0, v8, vcc_lo
                                        ; implicit-def: $vgpr10
	s_delay_alu instid0(VALU_DEP_3)
	v_cmpx_ne_u32_e32 0, v9
	s_xor_b32 s0, exec_lo, s0
; %bb.361:
	s_delay_alu instid0(VALU_DEP_2) | instskip(SKIP_1) | instid1(VALU_DEP_1)
	v_cmp_lt_u64_e32 vcc_lo, 0xffffff, v[7:8]
	v_add_nc_u32_e32 v10, 7, v14
	v_cndmask_b32_e32 v10, v9, v10, vcc_lo
	v_cndmask_b32_e64 v9, 0, 1, vcc_lo
	s_delay_alu instid0(VALU_DEP_1)
	v_lshrrev_b64 v[7:8], v9, v[7:8]
; %bb.362:
	s_and_not1_saveexec_b32 s0, s0
; %bb.363:
	s_delay_alu instid0(VALU_DEP_1)
	v_bfe_u32 v10, v7, 23, 1
; %bb.364:
	s_or_b32 exec_lo, exec_lo, s0
	s_delay_alu instid0(VALU_DEP_2) | instskip(NEXT) | instid1(VALU_DEP_2)
	v_lshrrev_b64 v[7:8], 20, v[7:8]
	v_cmp_gt_i32_e32 vcc_lo, 16, v10
	v_cmp_ne_u32_e64 s0, 0, v10
                                        ; implicit-def: $vgpr9
	s_delay_alu instid0(VALU_DEP_3) | instskip(NEXT) | instid1(VALU_DEP_1)
	v_dual_cndmask_b32 v8, 0, v8 :: v_dual_cndmask_b32 v7, 7, v7
	v_cmp_ne_u64_e32 vcc_lo, 0, v[7:8]
	s_delay_alu instid0(VALU_DEP_3) | instskip(NEXT) | instid1(SALU_CYCLE_1)
	s_or_b32 s0, s0, vcc_lo
	s_and_saveexec_b32 s5, s0
	s_delay_alu instid0(SALU_CYCLE_1)
	s_xor_b32 s0, exec_lo, s5
; %bb.365:
	v_min_i32_e32 v8, 15, v10
	s_delay_alu instid0(VALU_DEP_1) | instskip(NEXT) | instid1(VALU_DEP_1)
	v_lshl_or_b32 v8, v8, 3, v13
                                        ; implicit-def: $vgpr13
	v_and_or_b32 v9, v7, 7, v8
; %bb.366:
	s_and_not1_saveexec_b32 s0, s0
; %bb.367:
	v_mov_b32_e32 v9, v13
; %bb.368:
	s_or_b32 exec_lo, exec_lo, s0
.LBB8_369:
	s_delay_alu instid0(SALU_CYCLE_1)
	s_or_b32 exec_lo, exec_lo, s4
.LBB8_370:
	s_and_not1_saveexec_b32 s0, s3
	s_delay_alu instid0(SALU_CYCLE_1)
	s_or_b32 exec_lo, exec_lo, s0
                                        ; implicit-def: $vgpr14
                                        ; implicit-def: $vgpr7_vgpr8
.LBB8_371:
	s_and_not1_saveexec_b32 s0, s2
; %bb.372:
	v_cmp_eq_u64_e32 vcc_lo, 0, v[7:8]
	v_or_b32_e32 v10, 0x7f, v14
	s_delay_alu instid0(VALU_DEP_1)
	v_cndmask_b32_e32 v9, v10, v9, vcc_lo
; %bb.373:
	s_or_b32 exec_lo, exec_lo, s0
	v_mad_i64_i32 v[7:8], null, 0x240, s8, v[3:4]
	v_lshlrev_b64 v[5:6], 3, v[5:6]
	v_lshlrev_b16 v10, 8, v21
	v_and_b32_e32 v13, 0xff, v22
	v_lshlrev_b16 v9, 8, v9
	v_and_b32_e32 v14, 0xff, v16
	;; [unrolled: 2-line block ×3, first 2 shown]
	v_add_co_u32 v3, vcc_lo, v7, v5
	v_add_co_ci_u32_e32 v4, vcc_lo, v8, v6, vcc_lo
	v_or_b32_e32 v5, v13, v10
	v_or_b32_e32 v6, v14, v9
	;; [unrolled: 1-line block ×3, first 2 shown]
	v_lshlrev_b16 v8, 8, v23
	v_and_b32_e32 v9, 0xff, v24
	v_lshlrev_b16 v10, 8, v20
	v_and_b32_e32 v13, 0xff, v19
	;; [unrolled: 2-line block ×5, first 2 shown]
	v_or_b32_e32 v8, v9, v8
	v_or_b32_e32 v9, v13, v10
	;; [unrolled: 1-line block ×5, first 2 shown]
	v_and_b32_e32 v5, 0xffff, v5
	v_lshlrev_b32_e32 v6, 16, v6
	v_and_b32_e32 v7, 0xffff, v7
	v_lshlrev_b32_e32 v14, 16, v8
	v_and_b32_e32 v9, 0xffff, v9
	v_lshlrev_b32_e32 v10, 16, v10
	v_and_b32_e32 v12, 0xffff, v12
	v_lshlrev_b32_e32 v13, 16, v13
	v_add_co_u32 v1, vcc_lo, v1, v37
	v_add_co_ci_u32_e32 v2, vcc_lo, 0, v2, vcc_lo
	v_and_b32_e32 v0, 3, v0
	v_or_b32_e32 v8, v5, v6
	v_or_b32_e32 v7, v7, v14
	;; [unrolled: 1-line block ×4, first 2 shown]
	s_mov_b32 s0, exec_lo
	global_store_b128 v[1:2], v[5:8], off
	v_cmpx_eq_u32_e32 0, v0
	s_cbranch_execz .LBB8_375
; %bb.374:
	v_add_f32_e32 v0, 0x42fe0000, v11
	v_lshrrev_b32_e32 v1, 2, v38
	s_delay_alu instid0(VALU_DEP_2) | instskip(NEXT) | instid1(VALU_DEP_1)
	v_minmax_f32 v0, v0, 0x437f0000, 0
	v_cvt_i32_f32_e32 v2, v0
	s_delay_alu instid0(VALU_DEP_3)
	v_add_co_u32 v0, vcc_lo, v3, v1
	v_add_co_ci_u32_e32 v1, vcc_lo, 0, v4, vcc_lo
	global_store_b8 v[0:1], v2, off
.LBB8_375:
	s_or_b32 exec_lo, exec_lo, s0
	s_delay_alu instid0(SALU_CYCLE_1)
	s_mov_b32 s0, exec_lo
	v_cmpx_eq_u32_e32 0, v38
	s_cbranch_execz .LBB8_377
; %bb.376:
	v_mov_b32_e32 v0, 0
	global_store_b8 v[3:4], v0, off offset:7
.LBB8_377:
	s_or_b32 exec_lo, exec_lo, s0
                                        ; implicit-def: $vgpr37
                                        ; implicit-def: $vgpr34
                                        ; implicit-def: $vgpr35
                                        ; implicit-def: $vgpr39
                                        ; implicit-def: $vgpr40
                                        ; implicit-def: $vgpr41
                                        ; implicit-def: $vgpr42
                                        ; implicit-def: $vgpr43
                                        ; implicit-def: $vgpr44
                                        ; implicit-def: $vgpr45
                                        ; implicit-def: $vgpr46
                                        ; implicit-def: $vgpr47
                                        ; implicit-def: $vgpr48
                                        ; implicit-def: $vgpr49
                                        ; implicit-def: $vgpr50
                                        ; implicit-def: $vgpr51
                                        ; implicit-def: $vgpr52
                                        ; implicit-def: $vgpr1_vgpr2
.LBB8_378:
	s_and_not1_saveexec_b32 s0, s1
	s_cbranch_execz .LBB8_380
; %bb.379:
	v_lshlrev_b32_e32 v0, 1, v37
	v_perm_b32 v3, v44, v43, 0x7060302
	v_perm_b32 v7, v52, v51, 0x7060302
	;; [unrolled: 1-line block ×4, first 2 shown]
	s_waitcnt lgkmcnt(0)
	v_add_co_u32 v8, vcc_lo, v1, v0
	v_add_co_ci_u32_e32 v9, vcc_lo, 0, v2, vcc_lo
	v_perm_b32 v2, v42, v41, 0x7060302
	v_perm_b32 v1, v40, v39, 0x7060302
	;; [unrolled: 1-line block ×4, first 2 shown]
	s_clause 0x1
	global_store_b128 v[8:9], v[0:3], off offset:-448
	global_store_b128 v[8:9], v[4:7], off offset:-432
.LBB8_380:
	s_or_b32 exec_lo, exec_lo, s7
                                        ; implicit-def: $vgpr33
                                        ; implicit-def: $vgpr35
                                        ; implicit-def: $vgpr37
                                        ; implicit-def: $vgpr1_vgpr2_vgpr3_vgpr4_vgpr5_vgpr6_vgpr7_vgpr8_vgpr9_vgpr10_vgpr11_vgpr12_vgpr13_vgpr14_vgpr15_vgpr16
	s_and_not1_saveexec_b32 s0, s6
	s_cbranch_execz .LBB8_446
.LBB8_381:
	v_and_b32_e32 v0, 0x7f800000, v1
	s_delay_alu instid0(VALU_DEP_1) | instskip(SKIP_1) | instid1(SALU_CYCLE_1)
	v_cmp_ne_u32_e32 vcc_lo, 0x7f800000, v0
                                        ; implicit-def: $vgpr0
	s_and_saveexec_b32 s1, vcc_lo
	s_xor_b32 s1, exec_lo, s1
; %bb.382:
	v_bfe_u32 v0, v1, 16, 1
	s_delay_alu instid0(VALU_DEP_1)
	v_add3_u32 v0, v1, v0, 0x7fff
; %bb.383:
	s_and_not1_saveexec_b32 s1, s1
; %bb.384:
	v_and_b32_e32 v0, 0xffff, v1
	v_or_b32_e32 v17, 0x10000, v1
	s_delay_alu instid0(VALU_DEP_2) | instskip(NEXT) | instid1(VALU_DEP_2)
	v_cmp_eq_u32_e32 vcc_lo, 0, v0
	v_cndmask_b32_e32 v0, v17, v1, vcc_lo
; %bb.385:
	s_or_b32 exec_lo, exec_lo, s1
	v_and_b32_e32 v1, 0x7f800000, v2
	s_mov_b32 s1, exec_lo
                                        ; implicit-def: $vgpr17
	s_delay_alu instid0(VALU_DEP_1)
	v_cmpx_ne_u32_e32 0x7f800000, v1
	s_xor_b32 s1, exec_lo, s1
; %bb.386:
	v_bfe_u32 v1, v2, 16, 1
	s_delay_alu instid0(VALU_DEP_1)
	v_add3_u32 v17, v2, v1, 0x7fff
; %bb.387:
	s_and_not1_saveexec_b32 s1, s1
; %bb.388:
	v_and_b32_e32 v1, 0xffff, v2
	v_or_b32_e32 v17, 0x10000, v2
	s_delay_alu instid0(VALU_DEP_2) | instskip(NEXT) | instid1(VALU_DEP_2)
	v_cmp_eq_u32_e32 vcc_lo, 0, v1
	v_cndmask_b32_e32 v17, v17, v2, vcc_lo
; %bb.389:
	s_or_b32 exec_lo, exec_lo, s1
	v_and_b32_e32 v1, 0x7f800000, v3
	s_mov_b32 s1, exec_lo
                                        ; implicit-def: $vgpr18
	s_delay_alu instid0(VALU_DEP_1)
	v_cmpx_ne_u32_e32 0x7f800000, v1
	s_xor_b32 s1, exec_lo, s1
; %bb.390:
	v_bfe_u32 v1, v3, 16, 1
	s_delay_alu instid0(VALU_DEP_1)
	v_add3_u32 v18, v3, v1, 0x7fff
; %bb.391:
	s_and_not1_saveexec_b32 s1, s1
; %bb.392:
	v_and_b32_e32 v1, 0xffff, v3
	v_or_b32_e32 v2, 0x10000, v3
	s_delay_alu instid0(VALU_DEP_2) | instskip(NEXT) | instid1(VALU_DEP_2)
	v_cmp_eq_u32_e32 vcc_lo, 0, v1
	v_cndmask_b32_e32 v18, v2, v3, vcc_lo
; %bb.393:
	s_or_b32 exec_lo, exec_lo, s1
	v_and_b32_e32 v1, 0x7f800000, v4
	s_mov_b32 s1, exec_lo
                                        ; implicit-def: $vgpr19
	s_delay_alu instid0(VALU_DEP_1)
	v_cmpx_ne_u32_e32 0x7f800000, v1
	s_xor_b32 s1, exec_lo, s1
; %bb.394:
	v_bfe_u32 v1, v4, 16, 1
	s_delay_alu instid0(VALU_DEP_1)
	v_add3_u32 v19, v4, v1, 0x7fff
; %bb.395:
	s_and_not1_saveexec_b32 s1, s1
; %bb.396:
	v_and_b32_e32 v1, 0xffff, v4
	v_or_b32_e32 v2, 0x10000, v4
	s_delay_alu instid0(VALU_DEP_2) | instskip(NEXT) | instid1(VALU_DEP_2)
	v_cmp_eq_u32_e32 vcc_lo, 0, v1
	v_cndmask_b32_e32 v19, v2, v4, vcc_lo
; %bb.397:
	s_or_b32 exec_lo, exec_lo, s1
	v_and_b32_e32 v1, 0x7f800000, v5
	s_mov_b32 s1, exec_lo
                                        ; implicit-def: $vgpr20
	s_delay_alu instid0(VALU_DEP_1)
	v_cmpx_ne_u32_e32 0x7f800000, v1
	s_xor_b32 s1, exec_lo, s1
; %bb.398:
	v_bfe_u32 v1, v5, 16, 1
	s_delay_alu instid0(VALU_DEP_1)
	v_add3_u32 v20, v5, v1, 0x7fff
; %bb.399:
	s_and_not1_saveexec_b32 s1, s1
; %bb.400:
	v_and_b32_e32 v1, 0xffff, v5
	v_or_b32_e32 v2, 0x10000, v5
	s_delay_alu instid0(VALU_DEP_2) | instskip(NEXT) | instid1(VALU_DEP_2)
	v_cmp_eq_u32_e32 vcc_lo, 0, v1
	v_cndmask_b32_e32 v20, v2, v5, vcc_lo
; %bb.401:
	s_or_b32 exec_lo, exec_lo, s1
	v_and_b32_e32 v1, 0x7f800000, v6
	s_mov_b32 s1, exec_lo
                                        ; implicit-def: $vgpr21
	s_delay_alu instid0(VALU_DEP_1)
	v_cmpx_ne_u32_e32 0x7f800000, v1
	s_xor_b32 s1, exec_lo, s1
; %bb.402:
	v_bfe_u32 v1, v6, 16, 1
	s_delay_alu instid0(VALU_DEP_1)
	v_add3_u32 v21, v6, v1, 0x7fff
; %bb.403:
	s_and_not1_saveexec_b32 s1, s1
; %bb.404:
	v_and_b32_e32 v1, 0xffff, v6
	v_or_b32_e32 v2, 0x10000, v6
	s_delay_alu instid0(VALU_DEP_2) | instskip(NEXT) | instid1(VALU_DEP_2)
	v_cmp_eq_u32_e32 vcc_lo, 0, v1
	v_cndmask_b32_e32 v21, v2, v6, vcc_lo
; %bb.405:
	s_or_b32 exec_lo, exec_lo, s1
	v_and_b32_e32 v1, 0x7f800000, v7
	s_mov_b32 s1, exec_lo
                                        ; implicit-def: $vgpr22
	s_delay_alu instid0(VALU_DEP_1)
	v_cmpx_ne_u32_e32 0x7f800000, v1
	s_xor_b32 s1, exec_lo, s1
; %bb.406:
	v_bfe_u32 v1, v7, 16, 1
	s_delay_alu instid0(VALU_DEP_1)
	v_add3_u32 v22, v7, v1, 0x7fff
; %bb.407:
	s_and_not1_saveexec_b32 s1, s1
; %bb.408:
	v_and_b32_e32 v1, 0xffff, v7
	v_or_b32_e32 v2, 0x10000, v7
	s_delay_alu instid0(VALU_DEP_2) | instskip(NEXT) | instid1(VALU_DEP_2)
	v_cmp_eq_u32_e32 vcc_lo, 0, v1
	v_cndmask_b32_e32 v22, v2, v7, vcc_lo
; %bb.409:
	s_or_b32 exec_lo, exec_lo, s1
	s_waitcnt lgkmcnt(0)
	v_and_b32_e32 v1, 0x7f800000, v8
	s_mov_b32 s1, exec_lo
                                        ; implicit-def: $vgpr23
	s_delay_alu instid0(VALU_DEP_1)
	v_cmpx_ne_u32_e32 0x7f800000, v1
	s_xor_b32 s1, exec_lo, s1
; %bb.410:
	v_bfe_u32 v1, v8, 16, 1
	s_delay_alu instid0(VALU_DEP_1)
	v_add3_u32 v23, v8, v1, 0x7fff
; %bb.411:
	s_and_not1_saveexec_b32 s1, s1
; %bb.412:
	v_and_b32_e32 v1, 0xffff, v8
	v_or_b32_e32 v2, 0x10000, v8
	s_delay_alu instid0(VALU_DEP_2) | instskip(NEXT) | instid1(VALU_DEP_2)
	v_cmp_eq_u32_e32 vcc_lo, 0, v1
	v_cndmask_b32_e32 v23, v2, v8, vcc_lo
; %bb.413:
	s_or_b32 exec_lo, exec_lo, s1
	v_and_b32_e32 v1, 0x7f800000, v9
	s_mov_b32 s1, exec_lo
                                        ; implicit-def: $vgpr24
	s_delay_alu instid0(VALU_DEP_1)
	v_cmpx_ne_u32_e32 0x7f800000, v1
	s_xor_b32 s1, exec_lo, s1
; %bb.414:
	v_bfe_u32 v1, v9, 16, 1
	s_delay_alu instid0(VALU_DEP_1)
	v_add3_u32 v24, v9, v1, 0x7fff
; %bb.415:
	s_and_not1_saveexec_b32 s1, s1
; %bb.416:
	v_and_b32_e32 v1, 0xffff, v9
	v_or_b32_e32 v2, 0x10000, v9
	s_delay_alu instid0(VALU_DEP_2) | instskip(NEXT) | instid1(VALU_DEP_2)
	v_cmp_eq_u32_e32 vcc_lo, 0, v1
	v_cndmask_b32_e32 v24, v2, v9, vcc_lo
; %bb.417:
	s_or_b32 exec_lo, exec_lo, s1
	v_and_b32_e32 v1, 0x7f800000, v10
	s_mov_b32 s1, exec_lo
                                        ; implicit-def: $vgpr25
	s_delay_alu instid0(VALU_DEP_1)
	v_cmpx_ne_u32_e32 0x7f800000, v1
	s_xor_b32 s1, exec_lo, s1
; %bb.418:
	v_bfe_u32 v1, v10, 16, 1
	s_delay_alu instid0(VALU_DEP_1)
	v_add3_u32 v25, v10, v1, 0x7fff
; %bb.419:
	s_and_not1_saveexec_b32 s1, s1
; %bb.420:
	v_and_b32_e32 v1, 0xffff, v10
	v_or_b32_e32 v2, 0x10000, v10
	s_delay_alu instid0(VALU_DEP_2) | instskip(NEXT) | instid1(VALU_DEP_2)
	v_cmp_eq_u32_e32 vcc_lo, 0, v1
	v_cndmask_b32_e32 v25, v2, v10, vcc_lo
; %bb.421:
	s_or_b32 exec_lo, exec_lo, s1
	v_and_b32_e32 v1, 0x7f800000, v11
	s_mov_b32 s1, exec_lo
                                        ; implicit-def: $vgpr26
	s_delay_alu instid0(VALU_DEP_1)
	v_cmpx_ne_u32_e32 0x7f800000, v1
	s_xor_b32 s1, exec_lo, s1
; %bb.422:
	v_bfe_u32 v1, v11, 16, 1
	s_delay_alu instid0(VALU_DEP_1)
	v_add3_u32 v26, v11, v1, 0x7fff
; %bb.423:
	s_and_not1_saveexec_b32 s1, s1
; %bb.424:
	v_and_b32_e32 v1, 0xffff, v11
	v_or_b32_e32 v2, 0x10000, v11
	s_delay_alu instid0(VALU_DEP_2) | instskip(NEXT) | instid1(VALU_DEP_2)
	v_cmp_eq_u32_e32 vcc_lo, 0, v1
	v_cndmask_b32_e32 v26, v2, v11, vcc_lo
; %bb.425:
	s_or_b32 exec_lo, exec_lo, s1
	v_and_b32_e32 v1, 0x7f800000, v12
	s_mov_b32 s1, exec_lo
                                        ; implicit-def: $vgpr27
	s_delay_alu instid0(VALU_DEP_1)
	v_cmpx_ne_u32_e32 0x7f800000, v1
	s_xor_b32 s1, exec_lo, s1
; %bb.426:
	v_bfe_u32 v1, v12, 16, 1
	s_delay_alu instid0(VALU_DEP_1)
	v_add3_u32 v27, v12, v1, 0x7fff
; %bb.427:
	s_and_not1_saveexec_b32 s1, s1
; %bb.428:
	v_and_b32_e32 v1, 0xffff, v12
	v_or_b32_e32 v2, 0x10000, v12
	s_delay_alu instid0(VALU_DEP_2) | instskip(NEXT) | instid1(VALU_DEP_2)
	v_cmp_eq_u32_e32 vcc_lo, 0, v1
	v_cndmask_b32_e32 v27, v2, v12, vcc_lo
; %bb.429:
	s_or_b32 exec_lo, exec_lo, s1
	v_and_b32_e32 v1, 0x7f800000, v13
	s_mov_b32 s1, exec_lo
                                        ; implicit-def: $vgpr28
	s_delay_alu instid0(VALU_DEP_1)
	v_cmpx_ne_u32_e32 0x7f800000, v1
	s_xor_b32 s1, exec_lo, s1
; %bb.430:
	v_bfe_u32 v1, v13, 16, 1
	s_delay_alu instid0(VALU_DEP_1)
	v_add3_u32 v28, v13, v1, 0x7fff
; %bb.431:
	s_and_not1_saveexec_b32 s1, s1
; %bb.432:
	v_and_b32_e32 v1, 0xffff, v13
	v_or_b32_e32 v2, 0x10000, v13
	s_delay_alu instid0(VALU_DEP_2) | instskip(NEXT) | instid1(VALU_DEP_2)
	v_cmp_eq_u32_e32 vcc_lo, 0, v1
	v_cndmask_b32_e32 v28, v2, v13, vcc_lo
; %bb.433:
	s_or_b32 exec_lo, exec_lo, s1
	v_and_b32_e32 v1, 0x7f800000, v14
	s_mov_b32 s1, exec_lo
                                        ; implicit-def: $vgpr29
	s_delay_alu instid0(VALU_DEP_1)
	v_cmpx_ne_u32_e32 0x7f800000, v1
	s_xor_b32 s1, exec_lo, s1
; %bb.434:
	v_bfe_u32 v1, v14, 16, 1
	s_delay_alu instid0(VALU_DEP_1)
	v_add3_u32 v29, v14, v1, 0x7fff
; %bb.435:
	s_and_not1_saveexec_b32 s1, s1
; %bb.436:
	v_and_b32_e32 v1, 0xffff, v14
	v_or_b32_e32 v2, 0x10000, v14
	s_delay_alu instid0(VALU_DEP_2) | instskip(NEXT) | instid1(VALU_DEP_2)
	v_cmp_eq_u32_e32 vcc_lo, 0, v1
	v_cndmask_b32_e32 v29, v2, v14, vcc_lo
; %bb.437:
	s_or_b32 exec_lo, exec_lo, s1
	v_and_b32_e32 v1, 0x7f800000, v15
	s_mov_b32 s1, exec_lo
                                        ; implicit-def: $vgpr30
	s_delay_alu instid0(VALU_DEP_1)
	v_cmpx_ne_u32_e32 0x7f800000, v1
	s_xor_b32 s1, exec_lo, s1
; %bb.438:
	v_bfe_u32 v1, v15, 16, 1
	s_delay_alu instid0(VALU_DEP_1)
	v_add3_u32 v30, v15, v1, 0x7fff
; %bb.439:
	s_and_not1_saveexec_b32 s1, s1
; %bb.440:
	v_and_b32_e32 v1, 0xffff, v15
	v_or_b32_e32 v2, 0x10000, v15
	s_delay_alu instid0(VALU_DEP_2) | instskip(NEXT) | instid1(VALU_DEP_2)
	v_cmp_eq_u32_e32 vcc_lo, 0, v1
	v_cndmask_b32_e32 v30, v2, v15, vcc_lo
; %bb.441:
	s_or_b32 exec_lo, exec_lo, s1
	v_and_b32_e32 v1, 0x7f800000, v16
	s_mov_b32 s1, exec_lo
                                        ; implicit-def: $vgpr31
	s_delay_alu instid0(VALU_DEP_1)
	v_cmpx_ne_u32_e32 0x7f800000, v1
	s_xor_b32 s1, exec_lo, s1
; %bb.442:
	v_bfe_u32 v1, v16, 16, 1
	s_delay_alu instid0(VALU_DEP_1)
	v_add3_u32 v31, v16, v1, 0x7fff
                                        ; implicit-def: $vgpr1_vgpr2_vgpr3_vgpr4_vgpr5_vgpr6_vgpr7_vgpr8_vgpr9_vgpr10_vgpr11_vgpr12_vgpr13_vgpr14_vgpr15_vgpr16
; %bb.443:
	s_and_not1_saveexec_b32 s1, s1
; %bb.444:
	v_and_b32_e32 v1, 0xffff, v16
	v_or_b32_e32 v2, 0x10000, v16
	s_delay_alu instid0(VALU_DEP_2) | instskip(NEXT) | instid1(VALU_DEP_2)
	v_cmp_eq_u32_e32 vcc_lo, 0, v1
	v_cndmask_b32_e32 v31, v2, v16, vcc_lo
; %bb.445:
	s_or_b32 exec_lo, exec_lo, s1
	v_ashrrev_i32_e32 v36, 31, v35
	v_lshlrev_b64 v[1:2], 16, v[33:34]
	v_lshlrev_b32_e32 v5, 1, v37
	v_perm_b32 v0, v17, v0, 0x7060302
	v_perm_b32 v7, v31, v30, 0x7060302
	v_lshlrev_b64 v[3:4], 10, v[35:36]
	v_perm_b32 v6, v29, v28, 0x7060302
	v_add_co_u32 v1, vcc_lo, s12, v1
	v_add_co_ci_u32_e32 v2, vcc_lo, s13, v2, vcc_lo
	s_delay_alu instid0(VALU_DEP_2) | instskip(NEXT) | instid1(VALU_DEP_2)
	v_add_co_u32 v1, vcc_lo, v1, v3
	v_add_co_ci_u32_e32 v2, vcc_lo, v2, v4, vcc_lo
	v_perm_b32 v3, v23, v22, 0x7060302
	s_delay_alu instid0(VALU_DEP_3) | instskip(NEXT) | instid1(VALU_DEP_3)
	v_add_co_u32 v8, vcc_lo, v1, v5
	v_add_co_ci_u32_e32 v9, vcc_lo, 0, v2, vcc_lo
	v_perm_b32 v2, v21, v20, 0x7060302
	v_perm_b32 v1, v19, v18, 0x7060302
	;; [unrolled: 1-line block ×4, first 2 shown]
	s_clause 0x1
	global_store_b128 v[8:9], v[0:3], off
	global_store_b128 v[8:9], v[4:7], off offset:16
.LBB8_446:
	s_or_b32 exec_lo, exec_lo, s0
                                        ; implicit-def: $vgpr33
                                        ; implicit-def: $vgpr35
                                        ; implicit-def: $vgpr37
.LBB8_447:
	s_and_not1_saveexec_b32 s0, s9
	s_cbranch_execz .LBB8_449
; %bb.448:
	v_ashrrev_i32_e32 v36, 31, v35
	v_lshlrev_b64 v[0:1], 16, v[33:34]
	s_mov_b32 s0, 0
	s_delay_alu instid0(SALU_CYCLE_1) | instskip(NEXT) | instid1(VALU_DEP_2)
	s_mov_b32 s1, s0
	v_lshlrev_b64 v[2:3], 10, v[35:36]
	s_mov_b32 s2, s0
	s_waitcnt lgkmcnt(0)
	v_add_co_u32 v0, vcc_lo, s12, v0
	v_add_co_ci_u32_e32 v1, vcc_lo, s13, v1, vcc_lo
	s_mov_b32 s3, s0
	v_lshlrev_b32_e32 v4, 1, v37
	s_waitcnt vmcnt(1)
	v_add_co_u32 v5, vcc_lo, v0, v2
	v_add_co_ci_u32_e32 v6, vcc_lo, v1, v3, vcc_lo
	v_dual_mov_b32 v0, s0 :: v_dual_mov_b32 v3, s3
	v_mov_b32_e32 v1, s1
	s_delay_alu instid0(VALU_DEP_4)
	v_add_co_u32 v4, vcc_lo, v5, v4
	v_mov_b32_e32 v2, s2
	v_add_co_ci_u32_e32 v5, vcc_lo, 0, v6, vcc_lo
	s_clause 0x1
	global_store_b128 v[4:5], v[0:3], off
	global_store_b128 v[4:5], v[0:3], off offset:16
.LBB8_449:
	s_nop 0
	s_sendmsg sendmsg(MSG_DEALLOC_VGPRS)
	s_endpgm
	.section	.rodata,"a",@progbits
	.p2align	6, 0x0
	.amdhsa_kernel _ZN4vllm21deepseek_v4_fused_ops47fusedDeepseekV4QNormRopeKVRopeQuantInsertKernelIN3c108BFloat16ELi64EEEvPKT_PS4_S6_PhPKlSA_PKffiiiii
		.amdhsa_group_segment_fixed_size 0
		.amdhsa_private_segment_fixed_size 0
		.amdhsa_kernarg_size 336
		.amdhsa_user_sgpr_count 15
		.amdhsa_user_sgpr_dispatch_ptr 0
		.amdhsa_user_sgpr_queue_ptr 0
		.amdhsa_user_sgpr_kernarg_segment_ptr 1
		.amdhsa_user_sgpr_dispatch_id 0
		.amdhsa_user_sgpr_private_segment_size 0
		.amdhsa_wavefront_size32 1
		.amdhsa_uses_dynamic_stack 0
		.amdhsa_enable_private_segment 0
		.amdhsa_system_sgpr_workgroup_id_x 1
		.amdhsa_system_sgpr_workgroup_id_y 0
		.amdhsa_system_sgpr_workgroup_id_z 0
		.amdhsa_system_sgpr_workgroup_info 0
		.amdhsa_system_vgpr_workitem_id 0
		.amdhsa_next_free_vgpr 53
		.amdhsa_next_free_sgpr 22
		.amdhsa_reserve_vcc 1
		.amdhsa_float_round_mode_32 0
		.amdhsa_float_round_mode_16_64 0
		.amdhsa_float_denorm_mode_32 3
		.amdhsa_float_denorm_mode_16_64 3
		.amdhsa_dx10_clamp 1
		.amdhsa_ieee_mode 1
		.amdhsa_fp16_overflow 0
		.amdhsa_workgroup_processor_mode 1
		.amdhsa_memory_ordered 1
		.amdhsa_forward_progress 0
		.amdhsa_shared_vgpr_count 0
		.amdhsa_exception_fp_ieee_invalid_op 0
		.amdhsa_exception_fp_denorm_src 0
		.amdhsa_exception_fp_ieee_div_zero 0
		.amdhsa_exception_fp_ieee_overflow 0
		.amdhsa_exception_fp_ieee_underflow 0
		.amdhsa_exception_fp_ieee_inexact 0
		.amdhsa_exception_int_div_zero 0
	.end_amdhsa_kernel
	.section	.text._ZN4vllm21deepseek_v4_fused_ops47fusedDeepseekV4QNormRopeKVRopeQuantInsertKernelIN3c108BFloat16ELi64EEEvPKT_PS4_S6_PhPKlSA_PKffiiiii,"axG",@progbits,_ZN4vllm21deepseek_v4_fused_ops47fusedDeepseekV4QNormRopeKVRopeQuantInsertKernelIN3c108BFloat16ELi64EEEvPKT_PS4_S6_PhPKlSA_PKffiiiii,comdat
.Lfunc_end8:
	.size	_ZN4vllm21deepseek_v4_fused_ops47fusedDeepseekV4QNormRopeKVRopeQuantInsertKernelIN3c108BFloat16ELi64EEEvPKT_PS4_S6_PhPKlSA_PKffiiiii, .Lfunc_end8-_ZN4vllm21deepseek_v4_fused_ops47fusedDeepseekV4QNormRopeKVRopeQuantInsertKernelIN3c108BFloat16ELi64EEEvPKT_PS4_S6_PhPKlSA_PKffiiiii
                                        ; -- End function
	.section	.AMDGPU.csdata,"",@progbits
; Kernel info:
; codeLenInByte = 16800
; NumSgprs: 24
; NumVgprs: 53
; ScratchSize: 0
; MemoryBound: 1
; FloatMode: 240
; IeeeMode: 1
; LDSByteSize: 0 bytes/workgroup (compile time only)
; SGPRBlocks: 2
; VGPRBlocks: 6
; NumSGPRsForWavesPerEU: 24
; NumVGPRsForWavesPerEU: 53
; Occupancy: 16
; WaveLimiterHint : 1
; COMPUTE_PGM_RSRC2:SCRATCH_EN: 0
; COMPUTE_PGM_RSRC2:USER_SGPR: 15
; COMPUTE_PGM_RSRC2:TRAP_HANDLER: 0
; COMPUTE_PGM_RSRC2:TGID_X_EN: 1
; COMPUTE_PGM_RSRC2:TGID_Y_EN: 0
; COMPUTE_PGM_RSRC2:TGID_Z_EN: 0
; COMPUTE_PGM_RSRC2:TIDIG_COMP_CNT: 0
	.section	.text._ZN4vllm21deepseek_v4_fused_ops47fusedDeepseekV4QNormRopeKVRopeQuantInsertKernelIN3c108BFloat16ELi128EEEvPKT_PS4_S6_PhPKlSA_PKffiiiii,"axG",@progbits,_ZN4vllm21deepseek_v4_fused_ops47fusedDeepseekV4QNormRopeKVRopeQuantInsertKernelIN3c108BFloat16ELi128EEEvPKT_PS4_S6_PhPKlSA_PKffiiiii,comdat
	.protected	_ZN4vllm21deepseek_v4_fused_ops47fusedDeepseekV4QNormRopeKVRopeQuantInsertKernelIN3c108BFloat16ELi128EEEvPKT_PS4_S6_PhPKlSA_PKffiiiii ; -- Begin function _ZN4vllm21deepseek_v4_fused_ops47fusedDeepseekV4QNormRopeKVRopeQuantInsertKernelIN3c108BFloat16ELi128EEEvPKT_PS4_S6_PhPKlSA_PKffiiiii
	.globl	_ZN4vllm21deepseek_v4_fused_ops47fusedDeepseekV4QNormRopeKVRopeQuantInsertKernelIN3c108BFloat16ELi128EEEvPKT_PS4_S6_PhPKlSA_PKffiiiii
	.p2align	8
	.type	_ZN4vllm21deepseek_v4_fused_ops47fusedDeepseekV4QNormRopeKVRopeQuantInsertKernelIN3c108BFloat16ELi128EEEvPKT_PS4_S6_PhPKlSA_PKffiiiii,@function
_ZN4vllm21deepseek_v4_fused_ops47fusedDeepseekV4QNormRopeKVRopeQuantInsertKernelIN3c108BFloat16ELi128EEEvPKT_PS4_S6_PhPKlSA_PKffiiiii: ; @_ZN4vllm21deepseek_v4_fused_ops47fusedDeepseekV4QNormRopeKVRopeQuantInsertKernelIN3c108BFloat16ELi128EEEvPKT_PS4_S6_PhPKlSA_PKffiiiii
; %bb.0:
	s_clause 0x1
	s_load_b32 s2, s[0:1], 0x5c
	s_load_b128 s[8:11], s[0:1], 0x38
	v_lshrrev_b32_e32 v3, 5, v0
	s_waitcnt lgkmcnt(0)
	s_bfe_u32 s2, s2, 0xb0005
	s_delay_alu instid0(VALU_DEP_1) | instid1(SALU_CYCLE_1)
	v_mad_u64_u32 v[1:2], null, s15, s2, v[3:4]
	s_mov_b32 s2, exec_lo
	s_delay_alu instid0(VALU_DEP_1) | instskip(NEXT) | instid1(VALU_DEP_1)
	v_mul_hi_i32 v2, 0xfe03f81, v1
	v_lshrrev_b32_e32 v3, 31, v2
	v_ashrrev_i32_e32 v2, 3, v2
	s_delay_alu instid0(VALU_DEP_1) | instskip(NEXT) | instid1(VALU_DEP_1)
	v_add_nc_u32_e32 v33, v2, v3
	v_cmpx_gt_i32_e64 s9, v33
	s_cbranch_execz .LBB9_449
; %bb.1:
	s_load_b64 s[14:15], s[0:1], 0x48
	v_lshl_add_u32 v2, v33, 7, v33
	v_cmp_gt_i32_e64 s3, s10, v33
	s_delay_alu instid0(VALU_DEP_2) | instskip(NEXT) | instid1(VALU_DEP_1)
	v_sub_nc_u32_e32 v35, v1, v2
	v_cmp_ne_u32_e64 s2, 0x80, v35
	v_cmp_eq_u32_e32 vcc_lo, 0x80, v35
	s_delay_alu instid0(VALU_DEP_2) | instskip(NEXT) | instid1(SALU_CYCLE_1)
	s_or_b32 s3, s2, s3
	s_and_b32 exec_lo, exec_lo, s3
	s_cbranch_execz .LBB9_449
; %bb.2:
	s_clause 0x2
	s_load_b64 s[12:13], s[0:1], 0x8
	s_load_b128 s[4:7], s[0:1], 0x20
	s_load_b64 s[16:17], s[0:1], 0x30
	v_and_b32_e32 v38, 31, v0
	v_cmp_gt_i32_e64 s3, s11, v35
	v_ashrrev_i32_e32 v34, 31, v33
	s_xor_b32 s9, s2, -1
                                        ; implicit-def: $vgpr8
                                        ; implicit-def: $vgpr16
	s_delay_alu instid0(VALU_DEP_3) | instskip(NEXT) | instid1(VALU_DEP_3)
	v_lshlrev_b32_e32 v37, 4, v38
	s_or_b32 s9, s9, s3
	s_delay_alu instid0(SALU_CYCLE_1)
	s_and_saveexec_b32 s10, s9
	s_cbranch_execz .LBB9_8
; %bb.3:
                                        ; implicit-def: $vgpr1_vgpr2
	s_and_saveexec_b32 s3, vcc_lo
	s_delay_alu instid0(SALU_CYCLE_1)
	s_xor_b32 s18, exec_lo, s3
	s_cbranch_execz .LBB9_5
; %bb.4:
	s_load_b64 s[20:21], s[0:1], 0x10
	v_lshlrev_b64 v[1:2], 10, v[33:34]
	v_lshlrev_b32_e32 v3, 1, v37
	s_waitcnt lgkmcnt(0)
	s_delay_alu instid0(VALU_DEP_2) | instskip(NEXT) | instid1(VALU_DEP_1)
	v_add_co_u32 v1, s3, s20, v1
	v_add_co_ci_u32_e64 v2, s3, s21, v2, s3
	s_delay_alu instid0(VALU_DEP_2) | instskip(NEXT) | instid1(VALU_DEP_1)
	v_add_co_u32 v1, s3, v1, v3
	v_add_co_ci_u32_e64 v2, s3, 0, v2, s3
.LBB9_5:
	s_and_not1_saveexec_b32 s18, s18
	s_cbranch_execz .LBB9_7
; %bb.6:
	v_ashrrev_i32_e32 v36, 31, v35
	s_load_b64 s[20:21], s[0:1], 0x0
	s_delay_alu instid0(VALU_DEP_1) | instskip(NEXT) | instid1(VALU_DEP_1)
	v_mad_i64_i32 v[1:2], null, v33, s11, v[35:36]
	v_lshlrev_b64 v[1:2], 10, v[1:2]
	s_delay_alu instid0(VALU_DEP_1) | instskip(SKIP_1) | instid1(VALU_DEP_1)
	v_lshl_or_b32 v1, v37, 1, v1
	s_waitcnt lgkmcnt(0)
	v_add_co_u32 v1, s3, s20, v1
	s_delay_alu instid0(VALU_DEP_1)
	v_add_co_ci_u32_e64 v2, s3, s21, v2, s3
.LBB9_7:
	s_or_b32 exec_lo, exec_lo, s18
	s_clause 0x1
	global_load_b128 v[5:8], v[1:2], off
	global_load_b128 v[13:16], v[1:2], off offset:16
.LBB9_8:
	s_or_b32 exec_lo, exec_lo, s10
	s_load_b64 s[10:11], s[0:1], 0x18
	s_and_saveexec_b32 s0, s9
	s_delay_alu instid0(SALU_CYCLE_1)
	s_xor_b32 s9, exec_lo, s0
	s_cbranch_execz .LBB9_447
; %bb.9:
	s_waitcnt vmcnt(1)
	v_lshlrev_b32_e32 v1, 16, v5
	v_and_b32_e32 v2, 0xffff0000, v5
	v_lshlrev_b32_e32 v3, 16, v6
	v_and_b32_e32 v4, 0xffff0000, v6
	;; [unrolled: 2-line block ×4, first 2 shown]
	s_waitcnt vmcnt(0)
	v_lshlrev_b32_e32 v9, 16, v13
	v_and_b32_e32 v10, 0xffff0000, v13
	v_lshlrev_b32_e32 v11, 16, v14
	v_and_b32_e32 v12, 0xffff0000, v14
	v_lshlrev_b32_e32 v13, 16, v15
	v_and_b32_e32 v14, 0xffff0000, v15
	v_lshlrev_b32_e32 v15, 16, v16
	v_and_b32_e32 v16, 0xffff0000, v16
	s_and_saveexec_b32 s1, s2
	s_cbranch_execz .LBB9_11
; %bb.10:
	v_mbcnt_lo_u32_b32 v18, -1, 0
	s_delay_alu instid0(VALU_DEP_1) | instskip(SKIP_1) | instid1(VALU_DEP_2)
	v_xor_b32_e32 v19, 16, v18
	v_xor_b32_e32 v20, 8, v18
	v_cmp_gt_i32_e64 s0, 32, v19
	s_delay_alu instid0(VALU_DEP_1) | instskip(NEXT) | instid1(VALU_DEP_3)
	v_cndmask_b32_e64 v19, v18, v19, s0
	v_cmp_gt_i32_e64 s0, 32, v20
	s_delay_alu instid0(VALU_DEP_2) | instskip(NEXT) | instid1(VALU_DEP_2)
	v_lshlrev_b32_e32 v19, 2, v19
	v_cndmask_b32_e64 v20, v18, v20, s0
	s_delay_alu instid0(VALU_DEP_1) | instskip(NEXT) | instid1(VALU_DEP_1)
	v_dual_mul_f32 v17, v2, v2 :: v_dual_lshlrev_b32 v20, 2, v20
	v_fmac_f32_e32 v17, v1, v1
	s_delay_alu instid0(VALU_DEP_1) | instskip(NEXT) | instid1(VALU_DEP_1)
	v_fmac_f32_e32 v17, v3, v3
	v_fmac_f32_e32 v17, v4, v4
	s_delay_alu instid0(VALU_DEP_1) | instskip(NEXT) | instid1(VALU_DEP_1)
	v_fmac_f32_e32 v17, v5, v5
	;; [unrolled: 3-line block ×7, first 2 shown]
	v_fmac_f32_e32 v17, v16, v16
	ds_bpermute_b32 v19, v19, v17
	s_waitcnt lgkmcnt(0)
	v_add_f32_e32 v17, v17, v19
	ds_bpermute_b32 v19, v20, v17
	v_xor_b32_e32 v20, 4, v18
	s_delay_alu instid0(VALU_DEP_1) | instskip(NEXT) | instid1(VALU_DEP_1)
	v_cmp_gt_i32_e64 s0, 32, v20
	v_cndmask_b32_e64 v20, v18, v20, s0
	s_waitcnt lgkmcnt(0)
	s_delay_alu instid0(VALU_DEP_1) | instskip(SKIP_2) | instid1(VALU_DEP_1)
	v_dual_add_f32 v17, v17, v19 :: v_dual_lshlrev_b32 v20, 2, v20
	ds_bpermute_b32 v19, v20, v17
	v_xor_b32_e32 v20, 2, v18
	v_cmp_gt_i32_e64 s0, 32, v20
	s_delay_alu instid0(VALU_DEP_1) | instskip(SKIP_1) | instid1(VALU_DEP_1)
	v_cndmask_b32_e64 v20, v18, v20, s0
	s_waitcnt lgkmcnt(0)
	v_dual_add_f32 v17, v17, v19 :: v_dual_lshlrev_b32 v20, 2, v20
	ds_bpermute_b32 v19, v20, v17
	v_xor_b32_e32 v20, 1, v18
	s_delay_alu instid0(VALU_DEP_1) | instskip(NEXT) | instid1(VALU_DEP_1)
	v_cmp_gt_i32_e64 s0, 32, v20
	v_cndmask_b32_e64 v18, v18, v20, s0
	s_waitcnt lgkmcnt(0)
	s_delay_alu instid0(VALU_DEP_1) | instskip(SKIP_4) | instid1(VALU_DEP_1)
	v_dual_add_f32 v17, v17, v19 :: v_dual_lshlrev_b32 v18, 2, v18
	v_mov_b32_e32 v19, s8
	ds_bpermute_b32 v18, v18, v17
	s_waitcnt lgkmcnt(0)
	v_add_f32_e32 v17, v17, v18
	v_fmamk_f32 v17, v17, 0x3b000000, v19
	s_delay_alu instid0(VALU_DEP_1) | instskip(SKIP_1) | instid1(VALU_DEP_1)
	v_mul_f32_e32 v18, 0x4b800000, v17
	v_cmp_gt_f32_e64 s0, 0x800000, v17
	v_cndmask_b32_e64 v17, v17, v18, s0
	s_delay_alu instid0(VALU_DEP_1) | instskip(SKIP_2) | instid1(VALU_DEP_1)
	v_rsq_f32_e32 v17, v17
	s_waitcnt_depctr 0xfff
	v_mul_f32_e32 v18, 0x45800000, v17
	v_cndmask_b32_e64 v17, v17, v18, s0
	s_delay_alu instid0(VALU_DEP_1)
	v_mul_f32_e32 v1, v17, v1
	v_mul_f32_e32 v2, v17, v2
	;; [unrolled: 1-line block ×16, first 2 shown]
.LBB9_11:
	s_or_b32 exec_lo, exec_lo, s1
	v_cmp_gt_u32_e64 s0, 28, v38
	s_mov_b32 s2, exec_lo
	v_cmpx_lt_u32_e32 27, v38
	s_cbranch_execz .LBB9_14
; %bb.12:
	v_lshlrev_b64 v[17:18], 3, v[33:34]
	v_dual_mov_b32 v20, 0 :: v_dual_add_nc_u32 v19, 0xfffffe40, v37
	s_delay_alu instid0(VALU_DEP_1) | instskip(SKIP_1) | instid1(VALU_DEP_3)
	v_lshrrev_b32_e32 v19, 1, v19
	s_waitcnt lgkmcnt(0)
	v_add_co_u32 v17, s1, s6, v17
	s_delay_alu instid0(VALU_DEP_1) | instskip(NEXT) | instid1(VALU_DEP_3)
	v_add_co_ci_u32_e64 v18, s1, s7, v18, s1
	v_lshlrev_b64 v[19:20], 2, v[19:20]
	global_load_b64 v[17:18], v[17:18], off
	s_waitcnt vmcnt(0)
	v_lshlrev_b64 v[17:18], 8, v[17:18]
	s_delay_alu instid0(VALU_DEP_1) | instskip(NEXT) | instid1(VALU_DEP_1)
	v_add_co_u32 v17, s1, s16, v17
	v_add_co_ci_u32_e64 v18, s1, s17, v18, s1
	s_delay_alu instid0(VALU_DEP_2) | instskip(NEXT) | instid1(VALU_DEP_1)
	v_add_co_u32 v17, s1, v17, v19
	v_add_co_ci_u32_e64 v18, s1, v18, v20, s1
	s_clause 0x3
	global_load_b128 v[20:23], v[17:18], off offset:128
	global_load_b128 v[28:31], v[17:18], off offset:144
	global_load_b128 v[39:42], v[17:18], off
	global_load_b128 v[43:46], v[17:18], off offset:16
	s_waitcnt vmcnt(3)
	v_mul_f32_e32 v17, v2, v20
	v_dual_mul_f32 v18, v1, v20 :: v_dual_mul_f32 v19, v4, v21
	v_dual_mul_f32 v20, v3, v21 :: v_dual_mul_f32 v21, v6, v22
	v_mul_f32_e32 v24, v7, v23
	v_dual_mul_f32 v22, v5, v22 :: v_dual_mul_f32 v25, v8, v23
	s_waitcnt vmcnt(2)
	v_dual_mul_f32 v27, v10, v28 :: v_dual_mul_f32 v36, v12, v29
	v_mul_f32_e32 v26, v9, v28
	v_dual_mul_f32 v28, v11, v29 :: v_dual_mul_f32 v47, v16, v31
	v_mul_f32_e32 v29, v14, v30
	v_mul_f32_e32 v30, v13, v30
	;; [unrolled: 1-line block ×3, first 2 shown]
	s_waitcnt vmcnt(1)
	v_fma_f32 v17, v1, v39, -v17
	v_fmac_f32_e32 v18, v2, v39
	v_fma_f32 v19, v3, v40, -v19
	v_fmac_f32_e32 v20, v4, v40
	;; [unrolled: 2-line block ×4, first 2 shown]
	s_waitcnt vmcnt(0)
	v_fma_f32 v25, v9, v43, -v27
	v_fmac_f32_e32 v26, v10, v43
	v_fma_f32 v27, v11, v44, -v36
	v_fmac_f32_e32 v28, v12, v44
	;; [unrolled: 2-line block ×4, first 2 shown]
	v_dual_mov_b32 v1, v17 :: v_dual_mov_b32 v2, v18
	v_dual_mov_b32 v3, v19 :: v_dual_mov_b32 v4, v20
	;; [unrolled: 1-line block ×8, first 2 shown]
	s_or_b32 exec_lo, exec_lo, s2
	s_and_saveexec_b32 s1, vcc_lo
	s_delay_alu instid0(SALU_CYCLE_1)
	s_xor_b32 s6, exec_lo, s1
	s_cbranch_execnz .LBB9_15
.LBB9_13:
	s_and_not1_saveexec_b32 s0, s6
	s_cbranch_execnz .LBB9_381
	s_branch .LBB9_446
.LBB9_14:
	s_or_b32 exec_lo, exec_lo, s2
	s_and_saveexec_b32 s1, vcc_lo
	s_waitcnt lgkmcnt(0)
	s_xor_b32 s6, exec_lo, s1
	s_cbranch_execz .LBB9_13
.LBB9_15:
	v_lshlrev_b64 v[17:18], 3, v[33:34]
	s_mov_b32 s7, exec_lo
	s_delay_alu instid0(VALU_DEP_1) | instskip(NEXT) | instid1(VALU_DEP_2)
	v_add_co_u32 v17, vcc_lo, s4, v17
	v_add_co_ci_u32_e32 v18, vcc_lo, s5, v18, vcc_lo
	global_load_b64 v[17:18], v[17:18], off
	s_waitcnt vmcnt(0)
	v_cmpx_lt_i64_e32 -1, v[17:18]
                                        ; implicit-def: $vgpr34
	s_cbranch_execz .LBB9_380
; %bb.16:
	s_ashr_i32 s16, s14, 31
	v_mov_b32_e32 v19, 0
	v_or_b32_e32 v20, s16, v18
	s_mov_b32 s8, s14
	s_delay_alu instid0(VALU_DEP_1) | instskip(SKIP_1) | instid1(SALU_CYCLE_1)
	v_cmp_ne_u64_e32 vcc_lo, 0, v[19:20]
                                        ; implicit-def: $vgpr19_vgpr20
	s_and_saveexec_b32 s1, vcc_lo
	s_xor_b32 s14, exec_lo, s1
	s_cbranch_execz .LBB9_18
; %bb.17:
	s_add_u32 s4, s8, s16
	s_mov_b32 s2, s16
	s_mov_b32 s3, s16
	s_addc_u32 s5, s16, s16
	s_delay_alu instid0(SALU_CYCLE_1) | instskip(NEXT) | instid1(SALU_CYCLE_1)
	s_xor_b64 s[4:5], s[4:5], s[2:3]
	v_cvt_f32_u32_e32 v19, s4
	v_cvt_f32_u32_e32 v20, s5
	s_sub_u32 s1, 0, s4
	s_subb_u32 s17, 0, s5
	s_delay_alu instid0(VALU_DEP_1) | instskip(NEXT) | instid1(VALU_DEP_1)
	v_fmamk_f32 v19, v20, 0x4f800000, v19
	v_rcp_f32_e32 v19, v19
	s_waitcnt_depctr 0xfff
	v_mul_f32_e32 v19, 0x5f7ffffc, v19
	s_delay_alu instid0(VALU_DEP_1) | instskip(NEXT) | instid1(VALU_DEP_1)
	v_mul_f32_e32 v20, 0x2f800000, v19
	v_trunc_f32_e32 v20, v20
	s_delay_alu instid0(VALU_DEP_1) | instskip(SKIP_1) | instid1(VALU_DEP_2)
	v_fmamk_f32 v19, v20, 0xcf800000, v19
	v_cvt_u32_f32_e32 v20, v20
	v_cvt_u32_f32_e32 v19, v19
	s_delay_alu instid0(VALU_DEP_2) | instskip(NEXT) | instid1(VALU_DEP_2)
	v_mul_lo_u32 v21, s1, v20
	v_mul_hi_u32 v22, s1, v19
	v_mul_lo_u32 v23, s17, v19
	s_delay_alu instid0(VALU_DEP_2) | instskip(SKIP_1) | instid1(VALU_DEP_2)
	v_add_nc_u32_e32 v21, v22, v21
	v_mul_lo_u32 v22, s1, v19
	v_add_nc_u32_e32 v21, v21, v23
	s_delay_alu instid0(VALU_DEP_2) | instskip(NEXT) | instid1(VALU_DEP_2)
	v_mul_hi_u32 v23, v19, v22
	v_mul_lo_u32 v24, v19, v21
	v_mul_hi_u32 v25, v19, v21
	v_mul_hi_u32 v26, v20, v22
	v_mul_lo_u32 v22, v20, v22
	v_mul_hi_u32 v27, v20, v21
	v_mul_lo_u32 v21, v20, v21
	v_add_co_u32 v23, vcc_lo, v23, v24
	v_add_co_ci_u32_e32 v24, vcc_lo, 0, v25, vcc_lo
	s_delay_alu instid0(VALU_DEP_2) | instskip(NEXT) | instid1(VALU_DEP_2)
	v_add_co_u32 v22, vcc_lo, v23, v22
	v_add_co_ci_u32_e32 v22, vcc_lo, v24, v26, vcc_lo
	v_add_co_ci_u32_e32 v23, vcc_lo, 0, v27, vcc_lo
	v_ashrrev_i32_e32 v26, 31, v18
	s_delay_alu instid0(VALU_DEP_3) | instskip(NEXT) | instid1(VALU_DEP_3)
	v_add_co_u32 v21, vcc_lo, v22, v21
	v_add_co_ci_u32_e32 v22, vcc_lo, 0, v23, vcc_lo
	s_delay_alu instid0(VALU_DEP_2) | instskip(NEXT) | instid1(VALU_DEP_2)
	v_add_co_u32 v19, vcc_lo, v19, v21
	v_add_co_ci_u32_e32 v20, vcc_lo, v20, v22, vcc_lo
	s_delay_alu instid0(VALU_DEP_2) | instskip(SKIP_1) | instid1(VALU_DEP_3)
	v_mul_hi_u32 v21, s1, v19
	v_mul_lo_u32 v23, s17, v19
	v_mul_lo_u32 v22, s1, v20
	s_delay_alu instid0(VALU_DEP_1) | instskip(SKIP_1) | instid1(VALU_DEP_2)
	v_add_nc_u32_e32 v21, v21, v22
	v_mul_lo_u32 v22, s1, v19
	v_add_nc_u32_e32 v21, v21, v23
	s_delay_alu instid0(VALU_DEP_2) | instskip(NEXT) | instid1(VALU_DEP_2)
	v_mul_hi_u32 v23, v19, v22
	v_mul_lo_u32 v24, v19, v21
	v_mul_hi_u32 v25, v19, v21
	v_mul_hi_u32 v27, v20, v22
	v_mul_lo_u32 v22, v20, v22
	v_mul_hi_u32 v28, v20, v21
	v_mul_lo_u32 v21, v20, v21
	v_add_co_u32 v23, vcc_lo, v23, v24
	v_add_co_ci_u32_e32 v24, vcc_lo, 0, v25, vcc_lo
	s_delay_alu instid0(VALU_DEP_2) | instskip(NEXT) | instid1(VALU_DEP_2)
	v_add_co_u32 v22, vcc_lo, v23, v22
	v_add_co_ci_u32_e32 v22, vcc_lo, v24, v27, vcc_lo
	v_add_co_ci_u32_e32 v23, vcc_lo, 0, v28, vcc_lo
	v_add_co_u32 v24, vcc_lo, v17, v26
	v_add_co_ci_u32_e32 v25, vcc_lo, v18, v26, vcc_lo
	s_delay_alu instid0(VALU_DEP_4) | instskip(NEXT) | instid1(VALU_DEP_4)
	v_add_co_u32 v21, vcc_lo, v22, v21
	v_add_co_ci_u32_e32 v22, vcc_lo, 0, v23, vcc_lo
	s_delay_alu instid0(VALU_DEP_4) | instskip(NEXT) | instid1(VALU_DEP_3)
	v_xor_b32_e32 v27, v24, v26
	v_add_co_u32 v23, vcc_lo, v19, v21
	s_delay_alu instid0(VALU_DEP_3) | instskip(SKIP_1) | instid1(VALU_DEP_3)
	v_add_co_ci_u32_e32 v28, vcc_lo, v20, v22, vcc_lo
	v_xor_b32_e32 v25, v25, v26
	v_mul_hi_u32 v29, v27, v23
	s_delay_alu instid0(VALU_DEP_3) | instskip(NEXT) | instid1(VALU_DEP_3)
	v_mad_u64_u32 v[19:20], null, v27, v28, 0
	v_mad_u64_u32 v[21:22], null, v25, v23, 0
	;; [unrolled: 1-line block ×3, first 2 shown]
	s_delay_alu instid0(VALU_DEP_3) | instskip(NEXT) | instid1(VALU_DEP_4)
	v_add_co_u32 v19, vcc_lo, v29, v19
	v_add_co_ci_u32_e32 v20, vcc_lo, 0, v20, vcc_lo
	s_delay_alu instid0(VALU_DEP_2) | instskip(NEXT) | instid1(VALU_DEP_2)
	v_add_co_u32 v19, vcc_lo, v19, v21
	v_add_co_ci_u32_e32 v19, vcc_lo, v20, v22, vcc_lo
	v_add_co_ci_u32_e32 v20, vcc_lo, 0, v24, vcc_lo
	s_delay_alu instid0(VALU_DEP_2) | instskip(NEXT) | instid1(VALU_DEP_2)
	v_add_co_u32 v21, vcc_lo, v19, v23
	v_add_co_ci_u32_e32 v22, vcc_lo, 0, v20, vcc_lo
	s_delay_alu instid0(VALU_DEP_2) | instskip(SKIP_1) | instid1(VALU_DEP_3)
	v_mul_lo_u32 v23, s5, v21
	v_mad_u64_u32 v[19:20], null, s4, v21, 0
	v_mul_lo_u32 v24, s4, v22
	s_delay_alu instid0(VALU_DEP_2) | instskip(NEXT) | instid1(VALU_DEP_2)
	v_sub_co_u32 v19, vcc_lo, v27, v19
	v_add3_u32 v20, v20, v24, v23
	s_delay_alu instid0(VALU_DEP_1) | instskip(NEXT) | instid1(VALU_DEP_1)
	v_sub_nc_u32_e32 v23, v25, v20
	v_subrev_co_ci_u32_e64 v23, s1, s5, v23, vcc_lo
	v_add_co_u32 v24, s1, v21, 2
	s_delay_alu instid0(VALU_DEP_1) | instskip(SKIP_3) | instid1(VALU_DEP_3)
	v_add_co_ci_u32_e64 v27, s1, 0, v22, s1
	v_sub_co_u32 v28, s1, v19, s4
	v_sub_co_ci_u32_e32 v20, vcc_lo, v25, v20, vcc_lo
	v_subrev_co_ci_u32_e64 v23, s1, 0, v23, s1
	v_cmp_le_u32_e32 vcc_lo, s4, v28
	s_delay_alu instid0(VALU_DEP_3) | instskip(SKIP_1) | instid1(VALU_DEP_4)
	v_cmp_eq_u32_e64 s1, s5, v20
	v_cndmask_b32_e64 v25, 0, -1, vcc_lo
	v_cmp_le_u32_e32 vcc_lo, s5, v23
	v_cndmask_b32_e64 v28, 0, -1, vcc_lo
	v_cmp_le_u32_e32 vcc_lo, s4, v19
	;; [unrolled: 2-line block ×3, first 2 shown]
	v_cndmask_b32_e64 v29, 0, -1, vcc_lo
	v_cmp_eq_u32_e32 vcc_lo, s5, v23
	s_delay_alu instid0(VALU_DEP_2) | instskip(SKIP_3) | instid1(VALU_DEP_3)
	v_cndmask_b32_e64 v19, v29, v19, s1
	v_cndmask_b32_e32 v23, v28, v25, vcc_lo
	v_add_co_u32 v25, vcc_lo, v21, 1
	v_add_co_ci_u32_e32 v28, vcc_lo, 0, v22, vcc_lo
	v_cmp_ne_u32_e32 vcc_lo, 0, v23
	s_delay_alu instid0(VALU_DEP_2) | instskip(SKIP_2) | instid1(VALU_DEP_3)
	v_dual_cndmask_b32 v20, v28, v27 :: v_dual_cndmask_b32 v23, v25, v24
	v_cmp_ne_u32_e32 vcc_lo, 0, v19
	v_xor_b32_e32 v19, s2, v26
	v_dual_cndmask_b32 v21, v21, v23 :: v_dual_cndmask_b32 v20, v22, v20
	v_xor_b32_e32 v22, s3, v26
	s_delay_alu instid0(VALU_DEP_2) | instskip(NEXT) | instid1(VALU_DEP_2)
	v_xor_b32_e32 v21, v21, v19
	v_xor_b32_e32 v20, v20, v22
	s_delay_alu instid0(VALU_DEP_2) | instskip(NEXT) | instid1(VALU_DEP_2)
	v_sub_co_u32 v19, vcc_lo, v21, v19
	v_sub_co_ci_u32_e32 v20, vcc_lo, v20, v22, vcc_lo
.LBB9_18:
	s_and_not1_saveexec_b32 s1, s14
	s_cbranch_execz .LBB9_20
; %bb.19:
	v_cvt_f32_u32_e32 v19, s8
	s_sub_i32 s2, 0, s8
	s_delay_alu instid0(VALU_DEP_1) | instskip(SKIP_2) | instid1(VALU_DEP_1)
	v_rcp_iflag_f32_e32 v19, v19
	s_waitcnt_depctr 0xfff
	v_mul_f32_e32 v19, 0x4f7ffffe, v19
	v_cvt_u32_f32_e32 v19, v19
	s_delay_alu instid0(VALU_DEP_1) | instskip(NEXT) | instid1(VALU_DEP_1)
	v_mul_lo_u32 v20, s2, v19
	v_mul_hi_u32 v20, v19, v20
	s_delay_alu instid0(VALU_DEP_1) | instskip(NEXT) | instid1(VALU_DEP_1)
	v_add_nc_u32_e32 v19, v19, v20
	v_mul_hi_u32 v19, v17, v19
	s_delay_alu instid0(VALU_DEP_1) | instskip(SKIP_1) | instid1(VALU_DEP_2)
	v_mul_lo_u32 v20, v19, s8
	v_add_nc_u32_e32 v21, 1, v19
	v_sub_nc_u32_e32 v20, v17, v20
	s_delay_alu instid0(VALU_DEP_1) | instskip(SKIP_1) | instid1(VALU_DEP_2)
	v_subrev_nc_u32_e32 v22, s8, v20
	v_cmp_le_u32_e32 vcc_lo, s8, v20
	v_dual_cndmask_b32 v20, v20, v22 :: v_dual_cndmask_b32 v19, v19, v21
	s_delay_alu instid0(VALU_DEP_1) | instskip(NEXT) | instid1(VALU_DEP_2)
	v_cmp_le_u32_e32 vcc_lo, s8, v20
	v_dual_mov_b32 v20, 0 :: v_dual_add_nc_u32 v21, 1, v19
	s_delay_alu instid0(VALU_DEP_1)
	v_cndmask_b32_e32 v19, v19, v21, vcc_lo
.LBB9_20:
	s_or_b32 exec_lo, exec_lo, s1
	v_and_b32_e32 v21, 0x7f800000, v1
	s_mov_b32 s1, exec_lo
                                        ; implicit-def: $vgpr34
	s_delay_alu instid0(VALU_DEP_1)
	v_cmpx_ne_u32_e32 0x7f800000, v21
	s_xor_b32 s1, exec_lo, s1
; %bb.21:
	v_bfe_u32 v21, v1, 16, 1
	s_delay_alu instid0(VALU_DEP_1)
	v_add3_u32 v34, v1, v21, 0x7fff
; %bb.22:
	s_and_not1_saveexec_b32 s1, s1
; %bb.23:
	v_and_b32_e32 v21, 0xffff, v1
	v_or_b32_e32 v22, 0x10000, v1
	s_delay_alu instid0(VALU_DEP_2) | instskip(NEXT) | instid1(VALU_DEP_2)
	v_cmp_eq_u32_e32 vcc_lo, 0, v21
	v_cndmask_b32_e32 v34, v22, v1, vcc_lo
; %bb.24:
	s_or_b32 exec_lo, exec_lo, s1
	v_and_b32_e32 v1, 0x7f800000, v2
	s_delay_alu instid0(VALU_DEP_2) | instskip(SKIP_1) | instid1(VALU_DEP_2)
	v_and_b32_e32 v36, 0xffff0000, v34
	s_mov_b32 s1, exec_lo
                                        ; implicit-def: $vgpr35
	v_cmpx_ne_u32_e32 0x7f800000, v1
	s_xor_b32 s1, exec_lo, s1
; %bb.25:
	v_bfe_u32 v1, v2, 16, 1
	s_delay_alu instid0(VALU_DEP_1)
	v_add3_u32 v35, v2, v1, 0x7fff
; %bb.26:
	s_and_not1_saveexec_b32 s1, s1
; %bb.27:
	v_and_b32_e32 v1, 0xffff, v2
	v_or_b32_e32 v21, 0x10000, v2
	s_delay_alu instid0(VALU_DEP_2) | instskip(NEXT) | instid1(VALU_DEP_2)
	v_cmp_eq_u32_e32 vcc_lo, 0, v1
	v_cndmask_b32_e32 v35, v21, v2, vcc_lo
; %bb.28:
	s_or_b32 exec_lo, exec_lo, s1
	v_and_b32_e32 v1, 0x7f800000, v3
	s_delay_alu instid0(VALU_DEP_2) | instskip(SKIP_1) | instid1(VALU_DEP_2)
	v_and_b32_e32 v33, 0xffff0000, v35
	s_mov_b32 s1, exec_lo
                                        ; implicit-def: $vgpr39
	v_cmpx_ne_u32_e32 0x7f800000, v1
	s_xor_b32 s1, exec_lo, s1
; %bb.29:
	v_bfe_u32 v1, v3, 16, 1
	s_delay_alu instid0(VALU_DEP_1)
	v_add3_u32 v39, v3, v1, 0x7fff
; %bb.30:
	s_and_not1_saveexec_b32 s1, s1
; %bb.31:
	v_and_b32_e32 v1, 0xffff, v3
	v_or_b32_e32 v2, 0x10000, v3
	s_delay_alu instid0(VALU_DEP_2) | instskip(NEXT) | instid1(VALU_DEP_2)
	v_cmp_eq_u32_e32 vcc_lo, 0, v1
	v_cndmask_b32_e32 v39, v2, v3, vcc_lo
; %bb.32:
	s_or_b32 exec_lo, exec_lo, s1
	v_and_b32_e32 v1, 0x7f800000, v4
	s_delay_alu instid0(VALU_DEP_2) | instskip(SKIP_1) | instid1(VALU_DEP_2)
	v_and_b32_e32 v32, 0xffff0000, v39
	s_mov_b32 s1, exec_lo
                                        ; implicit-def: $vgpr40
	v_cmpx_ne_u32_e32 0x7f800000, v1
	s_xor_b32 s1, exec_lo, s1
; %bb.33:
	v_bfe_u32 v1, v4, 16, 1
	s_delay_alu instid0(VALU_DEP_1)
	v_add3_u32 v40, v4, v1, 0x7fff
; %bb.34:
	s_and_not1_saveexec_b32 s1, s1
; %bb.35:
	v_and_b32_e32 v1, 0xffff, v4
	v_or_b32_e32 v2, 0x10000, v4
	s_delay_alu instid0(VALU_DEP_2) | instskip(NEXT) | instid1(VALU_DEP_2)
	v_cmp_eq_u32_e32 vcc_lo, 0, v1
	v_cndmask_b32_e32 v40, v2, v4, vcc_lo
; %bb.36:
	s_or_b32 exec_lo, exec_lo, s1
	v_and_b32_e32 v1, 0x7f800000, v5
	s_delay_alu instid0(VALU_DEP_2) | instskip(SKIP_1) | instid1(VALU_DEP_2)
	v_and_b32_e32 v31, 0xffff0000, v40
	s_mov_b32 s1, exec_lo
                                        ; implicit-def: $vgpr41
	v_cmpx_ne_u32_e32 0x7f800000, v1
	s_xor_b32 s1, exec_lo, s1
; %bb.37:
	v_bfe_u32 v1, v5, 16, 1
	s_delay_alu instid0(VALU_DEP_1)
	v_add3_u32 v41, v5, v1, 0x7fff
; %bb.38:
	s_and_not1_saveexec_b32 s1, s1
; %bb.39:
	v_and_b32_e32 v1, 0xffff, v5
	v_or_b32_e32 v2, 0x10000, v5
	s_delay_alu instid0(VALU_DEP_2) | instskip(NEXT) | instid1(VALU_DEP_2)
	v_cmp_eq_u32_e32 vcc_lo, 0, v1
	v_cndmask_b32_e32 v41, v2, v5, vcc_lo
; %bb.40:
	s_or_b32 exec_lo, exec_lo, s1
	v_and_b32_e32 v1, 0x7f800000, v6
	s_delay_alu instid0(VALU_DEP_2) | instskip(SKIP_1) | instid1(VALU_DEP_2)
	v_and_b32_e32 v30, 0xffff0000, v41
	s_mov_b32 s1, exec_lo
                                        ; implicit-def: $vgpr42
	v_cmpx_ne_u32_e32 0x7f800000, v1
	s_xor_b32 s1, exec_lo, s1
; %bb.41:
	v_bfe_u32 v1, v6, 16, 1
	s_delay_alu instid0(VALU_DEP_1)
	v_add3_u32 v42, v6, v1, 0x7fff
; %bb.42:
	s_and_not1_saveexec_b32 s1, s1
; %bb.43:
	v_and_b32_e32 v1, 0xffff, v6
	v_or_b32_e32 v2, 0x10000, v6
	s_delay_alu instid0(VALU_DEP_2) | instskip(NEXT) | instid1(VALU_DEP_2)
	v_cmp_eq_u32_e32 vcc_lo, 0, v1
	v_cndmask_b32_e32 v42, v2, v6, vcc_lo
; %bb.44:
	s_or_b32 exec_lo, exec_lo, s1
	v_and_b32_e32 v1, 0x7f800000, v7
	s_delay_alu instid0(VALU_DEP_2) | instskip(SKIP_1) | instid1(VALU_DEP_2)
	v_and_b32_e32 v29, 0xffff0000, v42
	s_mov_b32 s1, exec_lo
                                        ; implicit-def: $vgpr43
	v_cmpx_ne_u32_e32 0x7f800000, v1
	s_xor_b32 s1, exec_lo, s1
; %bb.45:
	v_bfe_u32 v1, v7, 16, 1
	s_delay_alu instid0(VALU_DEP_1)
	v_add3_u32 v43, v7, v1, 0x7fff
; %bb.46:
	s_and_not1_saveexec_b32 s1, s1
; %bb.47:
	v_and_b32_e32 v1, 0xffff, v7
	v_or_b32_e32 v2, 0x10000, v7
	s_delay_alu instid0(VALU_DEP_2) | instskip(NEXT) | instid1(VALU_DEP_2)
	v_cmp_eq_u32_e32 vcc_lo, 0, v1
	v_cndmask_b32_e32 v43, v2, v7, vcc_lo
; %bb.48:
	s_or_b32 exec_lo, exec_lo, s1
	v_and_b32_e32 v1, 0x7f800000, v8
	s_delay_alu instid0(VALU_DEP_2) | instskip(SKIP_1) | instid1(VALU_DEP_2)
	v_and_b32_e32 v26, 0xffff0000, v43
	s_mov_b32 s1, exec_lo
                                        ; implicit-def: $vgpr44
	v_cmpx_ne_u32_e32 0x7f800000, v1
	s_xor_b32 s1, exec_lo, s1
; %bb.49:
	v_bfe_u32 v1, v8, 16, 1
	s_delay_alu instid0(VALU_DEP_1)
	v_add3_u32 v44, v8, v1, 0x7fff
; %bb.50:
	s_and_not1_saveexec_b32 s1, s1
; %bb.51:
	v_and_b32_e32 v1, 0xffff, v8
	v_or_b32_e32 v2, 0x10000, v8
	s_delay_alu instid0(VALU_DEP_2) | instskip(NEXT) | instid1(VALU_DEP_2)
	v_cmp_eq_u32_e32 vcc_lo, 0, v1
	v_cndmask_b32_e32 v44, v2, v8, vcc_lo
; %bb.52:
	s_or_b32 exec_lo, exec_lo, s1
	v_and_b32_e32 v1, 0x7f800000, v9
	s_delay_alu instid0(VALU_DEP_2) | instskip(SKIP_1) | instid1(VALU_DEP_2)
	v_and_b32_e32 v28, 0xffff0000, v44
	s_mov_b32 s1, exec_lo
                                        ; implicit-def: $vgpr45
	v_cmpx_ne_u32_e32 0x7f800000, v1
	s_xor_b32 s1, exec_lo, s1
; %bb.53:
	v_bfe_u32 v1, v9, 16, 1
	s_delay_alu instid0(VALU_DEP_1)
	v_add3_u32 v45, v9, v1, 0x7fff
; %bb.54:
	s_and_not1_saveexec_b32 s1, s1
; %bb.55:
	v_and_b32_e32 v1, 0xffff, v9
	v_or_b32_e32 v2, 0x10000, v9
	s_delay_alu instid0(VALU_DEP_2) | instskip(NEXT) | instid1(VALU_DEP_2)
	v_cmp_eq_u32_e32 vcc_lo, 0, v1
	v_cndmask_b32_e32 v45, v2, v9, vcc_lo
; %bb.56:
	s_or_b32 exec_lo, exec_lo, s1
	v_and_b32_e32 v1, 0x7f800000, v10
	s_delay_alu instid0(VALU_DEP_2) | instskip(SKIP_1) | instid1(VALU_DEP_2)
	v_and_b32_e32 v27, 0xffff0000, v45
	s_mov_b32 s1, exec_lo
                                        ; implicit-def: $vgpr46
	v_cmpx_ne_u32_e32 0x7f800000, v1
	s_xor_b32 s1, exec_lo, s1
; %bb.57:
	v_bfe_u32 v1, v10, 16, 1
	s_delay_alu instid0(VALU_DEP_1)
	v_add3_u32 v46, v10, v1, 0x7fff
; %bb.58:
	s_and_not1_saveexec_b32 s1, s1
; %bb.59:
	v_and_b32_e32 v1, 0xffff, v10
	v_or_b32_e32 v2, 0x10000, v10
	s_delay_alu instid0(VALU_DEP_2) | instskip(NEXT) | instid1(VALU_DEP_2)
	v_cmp_eq_u32_e32 vcc_lo, 0, v1
	v_cndmask_b32_e32 v46, v2, v10, vcc_lo
; %bb.60:
	s_or_b32 exec_lo, exec_lo, s1
	v_and_b32_e32 v1, 0x7f800000, v11
	s_delay_alu instid0(VALU_DEP_2) | instskip(SKIP_1) | instid1(VALU_DEP_2)
	v_and_b32_e32 v25, 0xffff0000, v46
	s_mov_b32 s1, exec_lo
                                        ; implicit-def: $vgpr47
	v_cmpx_ne_u32_e32 0x7f800000, v1
	s_xor_b32 s1, exec_lo, s1
; %bb.61:
	v_bfe_u32 v1, v11, 16, 1
	s_delay_alu instid0(VALU_DEP_1)
	v_add3_u32 v47, v11, v1, 0x7fff
; %bb.62:
	s_and_not1_saveexec_b32 s1, s1
; %bb.63:
	v_and_b32_e32 v1, 0xffff, v11
	v_or_b32_e32 v2, 0x10000, v11
	s_delay_alu instid0(VALU_DEP_2) | instskip(NEXT) | instid1(VALU_DEP_2)
	v_cmp_eq_u32_e32 vcc_lo, 0, v1
	v_cndmask_b32_e32 v47, v2, v11, vcc_lo
; %bb.64:
	s_or_b32 exec_lo, exec_lo, s1
	v_and_b32_e32 v1, 0x7f800000, v12
	s_delay_alu instid0(VALU_DEP_2) | instskip(SKIP_1) | instid1(VALU_DEP_2)
	v_and_b32_e32 v24, 0xffff0000, v47
	s_mov_b32 s1, exec_lo
                                        ; implicit-def: $vgpr48
	v_cmpx_ne_u32_e32 0x7f800000, v1
	s_xor_b32 s1, exec_lo, s1
; %bb.65:
	v_bfe_u32 v1, v12, 16, 1
	s_delay_alu instid0(VALU_DEP_1)
	v_add3_u32 v48, v12, v1, 0x7fff
; %bb.66:
	s_and_not1_saveexec_b32 s1, s1
; %bb.67:
	v_and_b32_e32 v1, 0xffff, v12
	v_or_b32_e32 v2, 0x10000, v12
	s_delay_alu instid0(VALU_DEP_2) | instskip(NEXT) | instid1(VALU_DEP_2)
	v_cmp_eq_u32_e32 vcc_lo, 0, v1
	v_cndmask_b32_e32 v48, v2, v12, vcc_lo
; %bb.68:
	s_or_b32 exec_lo, exec_lo, s1
	v_and_b32_e32 v1, 0x7f800000, v13
	s_delay_alu instid0(VALU_DEP_2) | instskip(SKIP_1) | instid1(VALU_DEP_2)
	v_and_b32_e32 v23, 0xffff0000, v48
	s_mov_b32 s1, exec_lo
                                        ; implicit-def: $vgpr49
	v_cmpx_ne_u32_e32 0x7f800000, v1
	s_xor_b32 s1, exec_lo, s1
; %bb.69:
	v_bfe_u32 v1, v13, 16, 1
	s_delay_alu instid0(VALU_DEP_1)
	v_add3_u32 v49, v13, v1, 0x7fff
; %bb.70:
	s_and_not1_saveexec_b32 s1, s1
; %bb.71:
	v_and_b32_e32 v1, 0xffff, v13
	v_or_b32_e32 v2, 0x10000, v13
	s_delay_alu instid0(VALU_DEP_2) | instskip(NEXT) | instid1(VALU_DEP_2)
	v_cmp_eq_u32_e32 vcc_lo, 0, v1
	v_cndmask_b32_e32 v49, v2, v13, vcc_lo
; %bb.72:
	s_or_b32 exec_lo, exec_lo, s1
	v_and_b32_e32 v1, 0x7f800000, v14
	s_mov_b32 s1, exec_lo
                                        ; implicit-def: $vgpr50
	s_delay_alu instid0(VALU_DEP_1)
	v_cmpx_ne_u32_e32 0x7f800000, v1
	s_xor_b32 s1, exec_lo, s1
; %bb.73:
	v_bfe_u32 v1, v14, 16, 1
	s_delay_alu instid0(VALU_DEP_1)
	v_add3_u32 v50, v14, v1, 0x7fff
; %bb.74:
	s_and_not1_saveexec_b32 s1, s1
; %bb.75:
	v_and_b32_e32 v1, 0xffff, v14
	v_or_b32_e32 v2, 0x10000, v14
	s_delay_alu instid0(VALU_DEP_2) | instskip(NEXT) | instid1(VALU_DEP_2)
	v_cmp_eq_u32_e32 vcc_lo, 0, v1
	v_cndmask_b32_e32 v50, v2, v14, vcc_lo
; %bb.76:
	s_or_b32 exec_lo, exec_lo, s1
	v_and_b32_e32 v1, 0x7f800000, v15
	s_mov_b32 s1, exec_lo
                                        ; implicit-def: $vgpr51
	s_delay_alu instid0(VALU_DEP_1)
	v_cmpx_ne_u32_e32 0x7f800000, v1
	s_xor_b32 s1, exec_lo, s1
; %bb.77:
	v_bfe_u32 v1, v15, 16, 1
	s_delay_alu instid0(VALU_DEP_1)
	v_add3_u32 v51, v15, v1, 0x7fff
; %bb.78:
	s_and_not1_saveexec_b32 s1, s1
; %bb.79:
	v_and_b32_e32 v1, 0xffff, v15
	v_or_b32_e32 v2, 0x10000, v15
	s_delay_alu instid0(VALU_DEP_2) | instskip(NEXT) | instid1(VALU_DEP_2)
	v_cmp_eq_u32_e32 vcc_lo, 0, v1
	v_cndmask_b32_e32 v51, v2, v15, vcc_lo
; %bb.80:
	s_or_b32 exec_lo, exec_lo, s1
	v_and_b32_e32 v1, 0x7f800000, v16
	s_mov_b32 s1, exec_lo
                                        ; implicit-def: $vgpr52
	s_delay_alu instid0(VALU_DEP_1)
	v_cmpx_ne_u32_e32 0x7f800000, v1
	s_xor_b32 s1, exec_lo, s1
; %bb.81:
	v_bfe_u32 v1, v16, 16, 1
	s_delay_alu instid0(VALU_DEP_1)
	v_add3_u32 v52, v16, v1, 0x7fff
                                        ; implicit-def: $vgpr1_vgpr2_vgpr3_vgpr4_vgpr5_vgpr6_vgpr7_vgpr8_vgpr9_vgpr10_vgpr11_vgpr12_vgpr13_vgpr14_vgpr15_vgpr16
; %bb.82:
	s_and_not1_saveexec_b32 s1, s1
; %bb.83:
	v_and_b32_e32 v1, 0xffff, v16
	v_or_b32_e32 v2, 0x10000, v16
	s_delay_alu instid0(VALU_DEP_2) | instskip(NEXT) | instid1(VALU_DEP_2)
	v_cmp_eq_u32_e32 vcc_lo, 0, v1
	v_cndmask_b32_e32 v52, v2, v16, vcc_lo
; %bb.84:
	s_or_b32 exec_lo, exec_lo, s1
	v_max3_f32 v1, |v36|, 0, |v33|
	v_mbcnt_lo_u32_b32 v5, -1, 0
	v_and_b32_e32 v22, 0xffff0000, v49
	v_and_b32_e32 v16, 0xffff0000, v51
	v_mul_lo_u32 v6, v20, s8
	v_max3_f32 v1, v1, |v32|, |v31|
	v_xor_b32_e32 v2, 1, v5
	v_xor_b32_e32 v12, 2, v5
	v_mul_lo_u32 v8, v19, s16
	s_ashr_i32 s1, s15, 31
	v_max3_f32 v1, v1, |v30|, |v29|
	v_cmp_gt_i32_e32 vcc_lo, 32, v2
	v_and_b32_e32 v13, 0xffff0000, v52
	v_mad_u64_u32 v[3:4], null, v19, s15, s[10:11]
	s_delay_alu instid0(VALU_DEP_4)
	v_max3_f32 v1, v1, |v26|, |v28|
	v_cndmask_b32_e32 v2, v5, v2, vcc_lo
	v_cmp_gt_i32_e32 vcc_lo, 32, v12
	v_and_b32_e32 v21, 0xffff0000, v50
	v_mul_lo_u32 v10, v20, s15
	v_max3_f32 v1, v1, |v27|, |v25|
	v_mul_lo_u32 v11, v19, s1
	s_delay_alu instid0(VALU_DEP_2) | instskip(NEXT) | instid1(VALU_DEP_2)
	v_max3_f32 v1, v1, |v24|, |v23|
	v_add3_u32 v4, v10, v4, v11
	s_delay_alu instid0(VALU_DEP_2) | instskip(NEXT) | instid1(VALU_DEP_1)
	v_max3_f32 v1, v1, |v22|, |v21|
	v_max3_f32 v7, v1, |v16|, |v13|
	v_lshlrev_b32_e32 v2, 2, v2
	ds_bpermute_b32 v9, v2, v7
	v_mad_u64_u32 v[1:2], null, v19, s8, 0
	s_delay_alu instid0(VALU_DEP_1) | instskip(SKIP_1) | instid1(VALU_DEP_3)
	v_add3_u32 v2, v2, v8, v6
	v_cndmask_b32_e32 v8, v5, v12, vcc_lo
	v_sub_co_u32 v5, vcc_lo, v17, v1
	s_delay_alu instid0(VALU_DEP_3) | instskip(NEXT) | instid1(VALU_DEP_3)
	v_sub_co_ci_u32_e32 v6, vcc_lo, v18, v2, vcc_lo
	v_lshlrev_b32_e32 v8, 2, v8
	s_delay_alu instid0(VALU_DEP_3) | instskip(SKIP_2) | instid1(VALU_DEP_1)
	v_mad_u64_u32 v[1:2], null, 0x240, v5, v[3:4]
	s_waitcnt lgkmcnt(0)
	v_max_f32_e32 v9, v9, v9
	v_max_f32_e32 v7, v7, v9
	s_delay_alu instid0(VALU_DEP_3) | instskip(SKIP_3) | instid1(SALU_CYCLE_1)
	v_mad_u64_u32 v[9:10], null, 0x240, v6, v[2:3]
	ds_bpermute_b32 v8, v8, v7
	v_mov_b32_e32 v2, v9
	s_and_saveexec_b32 s1, s0
	s_xor_b32 s1, exec_lo, s1
	s_cbranch_execz .LBB9_378
; %bb.85:
	s_waitcnt lgkmcnt(0)
	v_max3_f32 v7, v7, v8, 0x38d1b717
	s_mov_b32 s0, 0xc3e00000
	s_delay_alu instid0(VALU_DEP_1) | instskip(SKIP_1) | instid1(VALU_DEP_2)
	v_div_scale_f32 v8, null, 0x43e00000, 0x43e00000, v7
	v_div_scale_f32 v11, vcc_lo, v7, 0x43e00000, v7
	v_rcp_f32_e32 v9, v8
	s_waitcnt_depctr 0xfff
	v_fma_f32 v10, -v8, v9, 1.0
	s_delay_alu instid0(VALU_DEP_1) | instskip(NEXT) | instid1(VALU_DEP_1)
	v_fmac_f32_e32 v9, v10, v9
	v_mul_f32_e32 v10, v11, v9
	s_delay_alu instid0(VALU_DEP_1) | instskip(NEXT) | instid1(VALU_DEP_1)
	v_fma_f32 v12, -v8, v10, v11
	v_fmac_f32_e32 v10, v12, v9
	s_delay_alu instid0(VALU_DEP_1) | instskip(NEXT) | instid1(VALU_DEP_1)
	v_fma_f32 v8, -v8, v10, v11
	v_div_fmas_f32 v8, v8, v9, v10
	s_delay_alu instid0(VALU_DEP_1) | instskip(NEXT) | instid1(VALU_DEP_1)
	v_div_fixup_f32 v7, v8, 0x43e00000, v7
	v_cmp_gt_f32_e32 vcc_lo, 0x800000, v7
	v_cndmask_b32_e64 v8, 1.0, 0x4f800000, vcc_lo
	s_delay_alu instid0(VALU_DEP_1) | instskip(SKIP_1) | instid1(VALU_DEP_2)
	v_mul_f32_e32 v7, v7, v8
	v_cndmask_b32_e64 v8, 0, 0x42000000, vcc_lo
	v_log_f32_e32 v7, v7
	s_waitcnt_depctr 0xfff
	v_sub_f32_e32 v7, v7, v8
	s_delay_alu instid0(VALU_DEP_1) | instskip(NEXT) | instid1(VALU_DEP_1)
	v_ceil_f32_e32 v11, v7
	v_cmp_lt_f32_e32 vcc_lo, 0x42fc0000, v11
	v_cndmask_b32_e64 v7, 0, 0x42800000, vcc_lo
	v_cndmask_b32_e64 v8, 1.0, 0x1f800000, vcc_lo
	s_delay_alu instid0(VALU_DEP_2) | instskip(NEXT) | instid1(VALU_DEP_1)
	v_sub_f32_e32 v7, v7, v11
	v_exp_f32_e32 v7, v7
	s_waitcnt_depctr 0xfff
	v_mul_f32_e32 v14, v7, v8
	s_delay_alu instid0(VALU_DEP_1) | instskip(NEXT) | instid1(VALU_DEP_1)
	v_dual_mov_b32 v8, 0 :: v_dual_mul_f32 v7, v14, v36
	v_mov_b32_e32 v18, v8
	s_delay_alu instid0(VALU_DEP_2) | instskip(SKIP_1) | instid1(VALU_DEP_1)
	v_maxmin_f32 v9, v7, s0, 0x43e00000
	s_mov_b32 s0, exec_lo
	v_lshrrev_b32_e32 v10, 24, v9
	v_and_b32_e32 v17, 0x7f800000, v9
	v_and_b32_e32 v7, 0x7fffff, v9
	s_delay_alu instid0(VALU_DEP_3) | instskip(NEXT) | instid1(VALU_DEP_1)
	v_and_b32_e32 v15, 0x80, v10
	v_or_b32_e32 v12, 0x7e, v15
	s_delay_alu instid0(VALU_DEP_4)
	v_cmpx_ne_u64_e32 0x7f800000, v[17:18]
	s_xor_b32 s2, exec_lo, s0
	s_cbranch_execz .LBB9_101
; %bb.86:
	v_dual_mov_b32 v18, v8 :: v_dual_and_b32 v17, 0x7fffffff, v9
	s_mov_b32 s0, exec_lo
	s_delay_alu instid0(VALU_DEP_1)
	v_cmpx_gt_u64_e32 0x43e00001, v[17:18]
	s_xor_b32 s3, exec_lo, s0
	s_cbranch_execz .LBB9_100
; %bb.87:
	v_mov_b32_e32 v12, 0
	s_mov_b32 s4, exec_lo
	v_cmpx_ne_u32_e32 0, v9
	s_cbranch_execz .LBB9_99
; %bb.88:
	v_bfe_u32 v12, v9, 23, 8
	v_or_b32_e32 v18, 0x800000, v7
	s_delay_alu instid0(VALU_DEP_2) | instskip(SKIP_1) | instid1(VALU_DEP_2)
	v_sub_nc_u32_e32 v9, 0x79, v12
	v_cmp_gt_u32_e32 vcc_lo, 0x7a, v12
	v_cndmask_b32_e32 v9, 0, v9, vcc_lo
	v_cmp_eq_u32_e32 vcc_lo, 0, v12
	s_delay_alu instid0(VALU_DEP_2) | instskip(NEXT) | instid1(VALU_DEP_1)
	v_cndmask_b32_e64 v17, v9, 0x78, vcc_lo
	v_dual_cndmask_b32 v7, v18, v7 :: v_dual_add_nc_u32 v18, 19, v17
	v_add_nc_u32_e32 v9, 20, v17
	s_delay_alu instid0(VALU_DEP_1) | instskip(NEXT) | instid1(VALU_DEP_1)
	v_lshlrev_b64 v[9:10], v9, -1
	v_not_b32_e32 v20, v9
	s_delay_alu instid0(VALU_DEP_2) | instskip(SKIP_1) | instid1(VALU_DEP_3)
	v_not_b32_e32 v19, v10
	v_lshlrev_b64 v[9:10], v18, 1
	v_and_b32_e32 v18, v7, v20
	v_lshrrev_b64 v[7:8], v17, v[7:8]
	s_delay_alu instid0(VALU_DEP_4) | instskip(NEXT) | instid1(VALU_DEP_1)
	v_and_b32_e32 v19, 0, v19
	v_cmp_eq_u64_e64 s0, v[18:19], v[9:10]
	s_delay_alu instid0(VALU_DEP_3) | instskip(NEXT) | instid1(VALU_DEP_2)
	v_dual_mov_b32 v10, v8 :: v_dual_mov_b32 v9, v7
	s_and_saveexec_b32 s5, s0
; %bb.89:
	v_bfe_u32 v9, v7, 20, 1
	s_delay_alu instid0(VALU_DEP_1) | instskip(NEXT) | instid1(VALU_DEP_1)
	v_add_co_u32 v9, s0, v7, v9
	v_add_co_u32 v9, s0, v9, -1
; %bb.90:
	s_or_b32 exec_lo, exec_lo, s5
	v_add_nc_u32_e32 v10, 0xffffff81, v12
	v_lshrrev_b32_e32 v12, 23, v7
	s_delay_alu instid0(VALU_DEP_3) | instskip(SKIP_1) | instid1(VALU_DEP_3)
	v_and_b32_e32 v9, 0xfffff, v9
	s_mov_b32 s0, exec_lo
	v_cndmask_b32_e64 v10, v10, 0xffffff82, vcc_lo
	s_delay_alu instid0(VALU_DEP_2) | instskip(SKIP_1) | instid1(VALU_DEP_3)
	v_add_co_u32 v7, vcc_lo, v9, v7
	v_add_co_ci_u32_e32 v8, vcc_lo, 0, v8, vcc_lo
	v_add3_u32 v10, v17, v10, v12
                                        ; implicit-def: $vgpr9
	s_delay_alu instid0(VALU_DEP_1) | instskip(NEXT) | instid1(VALU_DEP_1)
	v_add_nc_u32_e32 v12, 6, v10
	v_cmpx_ne_u32_e32 0, v12
	s_xor_b32 s0, exec_lo, s0
; %bb.91:
	v_cmp_lt_u64_e32 vcc_lo, 0xffffff, v[7:8]
	v_add_nc_u32_e32 v9, 7, v10
	v_cndmask_b32_e64 v10, 0, 1, vcc_lo
	s_delay_alu instid0(VALU_DEP_2) | instskip(NEXT) | instid1(VALU_DEP_2)
	v_cndmask_b32_e32 v9, v12, v9, vcc_lo
	v_lshrrev_b64 v[7:8], v10, v[7:8]
; %bb.92:
	s_and_not1_saveexec_b32 s0, s0
; %bb.93:
	s_delay_alu instid0(VALU_DEP_1)
	v_bfe_u32 v9, v7, 23, 1
; %bb.94:
	s_or_b32 exec_lo, exec_lo, s0
	s_delay_alu instid0(VALU_DEP_2) | instskip(NEXT) | instid1(VALU_DEP_2)
	v_lshrrev_b64 v[7:8], 20, v[7:8]
	v_cmp_gt_i32_e32 vcc_lo, 16, v9
	v_cmp_ne_u32_e64 s0, 0, v9
                                        ; implicit-def: $vgpr12
	s_delay_alu instid0(VALU_DEP_3) | instskip(NEXT) | instid1(VALU_DEP_1)
	v_dual_cndmask_b32 v8, 0, v8 :: v_dual_cndmask_b32 v7, 7, v7
	v_cmp_ne_u64_e32 vcc_lo, 0, v[7:8]
	s_delay_alu instid0(VALU_DEP_3) | instskip(NEXT) | instid1(SALU_CYCLE_1)
	s_or_b32 s0, s0, vcc_lo
	s_and_saveexec_b32 s5, s0
	s_delay_alu instid0(SALU_CYCLE_1)
	s_xor_b32 s0, exec_lo, s5
; %bb.95:
	v_min_i32_e32 v8, 15, v9
	s_delay_alu instid0(VALU_DEP_1) | instskip(NEXT) | instid1(VALU_DEP_1)
	v_lshl_or_b32 v8, v8, 3, v15
                                        ; implicit-def: $vgpr15
	v_and_or_b32 v12, v7, 7, v8
; %bb.96:
	s_and_not1_saveexec_b32 s0, s0
; %bb.97:
	v_mov_b32_e32 v12, v15
; %bb.98:
	s_or_b32 exec_lo, exec_lo, s0
.LBB9_99:
	s_delay_alu instid0(SALU_CYCLE_1)
	s_or_b32 exec_lo, exec_lo, s4
.LBB9_100:
	s_and_not1_saveexec_b32 s0, s3
	s_delay_alu instid0(SALU_CYCLE_1)
	s_or_b32 exec_lo, exec_lo, s0
                                        ; implicit-def: $vgpr10
                                        ; implicit-def: $vgpr7_vgpr8
.LBB9_101:
	s_and_not1_saveexec_b32 s0, s2
; %bb.102:
	v_cmp_eq_u64_e32 vcc_lo, 0, v[7:8]
	v_or_b32_e32 v9, 0x7f, v10
	s_delay_alu instid0(VALU_DEP_1)
	v_cndmask_b32_e32 v12, v9, v12, vcc_lo
; %bb.103:
	s_or_b32 exec_lo, exec_lo, s0
	v_dual_mul_f32 v7, v14, v33 :: v_dual_mov_b32 v8, 0
	s_mov_b32 s0, 0xc3e00000
	s_delay_alu instid0(VALU_DEP_1) | instid1(SALU_CYCLE_1)
	v_maxmin_f32 v9, v7, s0, 0x43e00000
	s_mov_b32 s0, exec_lo
	s_delay_alu instid0(VALU_DEP_2) | instskip(NEXT) | instid1(VALU_DEP_2)
	v_mov_b32_e32 v19, v8
	v_lshrrev_b32_e32 v10, 24, v9
	v_and_b32_e32 v18, 0x7f800000, v9
	v_and_b32_e32 v7, 0x7fffff, v9
	s_delay_alu instid0(VALU_DEP_3) | instskip(NEXT) | instid1(VALU_DEP_1)
	v_and_b32_e32 v17, 0x80, v10
	v_or_b32_e32 v15, 0x7e, v17
	s_delay_alu instid0(VALU_DEP_4)
	v_cmpx_ne_u64_e32 0x7f800000, v[18:19]
	s_xor_b32 s2, exec_lo, s0
	s_cbranch_execz .LBB9_119
; %bb.104:
	v_dual_mov_b32 v19, v8 :: v_dual_and_b32 v18, 0x7fffffff, v9
	s_mov_b32 s0, exec_lo
	s_delay_alu instid0(VALU_DEP_1)
	v_cmpx_gt_u64_e32 0x43e00001, v[18:19]
	s_xor_b32 s3, exec_lo, s0
	s_cbranch_execz .LBB9_118
; %bb.105:
	v_mov_b32_e32 v15, 0
	s_mov_b32 s4, exec_lo
	v_cmpx_ne_u32_e32 0, v9
	s_cbranch_execz .LBB9_117
; %bb.106:
	v_bfe_u32 v15, v9, 23, 8
	v_or_b32_e32 v19, 0x800000, v7
	s_delay_alu instid0(VALU_DEP_2) | instskip(SKIP_1) | instid1(VALU_DEP_2)
	v_sub_nc_u32_e32 v9, 0x79, v15
	v_cmp_gt_u32_e32 vcc_lo, 0x7a, v15
	v_cndmask_b32_e32 v9, 0, v9, vcc_lo
	v_cmp_eq_u32_e32 vcc_lo, 0, v15
	s_delay_alu instid0(VALU_DEP_2) | instskip(SKIP_1) | instid1(VALU_DEP_2)
	v_cndmask_b32_e64 v18, v9, 0x78, vcc_lo
	v_cndmask_b32_e32 v7, v19, v7, vcc_lo
	v_add_nc_u32_e32 v9, 20, v18
	v_add_nc_u32_e32 v19, 19, v18
	s_delay_alu instid0(VALU_DEP_2) | instskip(NEXT) | instid1(VALU_DEP_1)
	v_lshlrev_b64 v[9:10], v9, -1
	v_not_b32_e32 v33, v9
	s_delay_alu instid0(VALU_DEP_2) | instskip(NEXT) | instid1(VALU_DEP_4)
	v_not_b32_e32 v20, v10
	v_lshlrev_b64 v[9:10], v19, 1
	s_delay_alu instid0(VALU_DEP_3) | instskip(SKIP_1) | instid1(VALU_DEP_4)
	v_and_b32_e32 v19, v7, v33
	v_lshrrev_b64 v[7:8], v18, v[7:8]
	v_and_b32_e32 v20, 0, v20
	s_delay_alu instid0(VALU_DEP_1) | instskip(NEXT) | instid1(VALU_DEP_3)
	v_cmp_eq_u64_e64 s0, v[19:20], v[9:10]
	v_dual_mov_b32 v10, v8 :: v_dual_mov_b32 v9, v7
	s_delay_alu instid0(VALU_DEP_2)
	s_and_saveexec_b32 s5, s0
; %bb.107:
	v_bfe_u32 v9, v7, 20, 1
	s_delay_alu instid0(VALU_DEP_1) | instskip(NEXT) | instid1(VALU_DEP_1)
	v_add_co_u32 v9, s0, v7, v9
	v_add_co_u32 v9, s0, v9, -1
; %bb.108:
	s_or_b32 exec_lo, exec_lo, s5
	v_add_nc_u32_e32 v10, 0xffffff81, v15
	v_lshrrev_b32_e32 v15, 23, v7
	s_delay_alu instid0(VALU_DEP_3) | instskip(SKIP_1) | instid1(VALU_DEP_3)
	v_and_b32_e32 v9, 0xfffff, v9
	s_mov_b32 s0, exec_lo
	v_cndmask_b32_e64 v10, v10, 0xffffff82, vcc_lo
	s_delay_alu instid0(VALU_DEP_2) | instskip(SKIP_1) | instid1(VALU_DEP_3)
	v_add_co_u32 v7, vcc_lo, v9, v7
	v_add_co_ci_u32_e32 v8, vcc_lo, 0, v8, vcc_lo
	v_add3_u32 v10, v18, v10, v15
                                        ; implicit-def: $vgpr9
	s_delay_alu instid0(VALU_DEP_1) | instskip(NEXT) | instid1(VALU_DEP_1)
	v_add_nc_u32_e32 v15, 6, v10
	v_cmpx_ne_u32_e32 0, v15
	s_xor_b32 s0, exec_lo, s0
; %bb.109:
	v_cmp_lt_u64_e32 vcc_lo, 0xffffff, v[7:8]
	v_add_nc_u32_e32 v9, 7, v10
	v_cndmask_b32_e64 v10, 0, 1, vcc_lo
	s_delay_alu instid0(VALU_DEP_2) | instskip(NEXT) | instid1(VALU_DEP_2)
	v_cndmask_b32_e32 v9, v15, v9, vcc_lo
	v_lshrrev_b64 v[7:8], v10, v[7:8]
; %bb.110:
	s_and_not1_saveexec_b32 s0, s0
; %bb.111:
	s_delay_alu instid0(VALU_DEP_1)
	v_bfe_u32 v9, v7, 23, 1
; %bb.112:
	s_or_b32 exec_lo, exec_lo, s0
	s_delay_alu instid0(VALU_DEP_2) | instskip(NEXT) | instid1(VALU_DEP_2)
	v_lshrrev_b64 v[7:8], 20, v[7:8]
	v_cmp_gt_i32_e32 vcc_lo, 16, v9
	v_cmp_ne_u32_e64 s0, 0, v9
                                        ; implicit-def: $vgpr15
	s_delay_alu instid0(VALU_DEP_3) | instskip(NEXT) | instid1(VALU_DEP_1)
	v_dual_cndmask_b32 v8, 0, v8 :: v_dual_cndmask_b32 v7, 7, v7
	v_cmp_ne_u64_e32 vcc_lo, 0, v[7:8]
	s_delay_alu instid0(VALU_DEP_3) | instskip(NEXT) | instid1(SALU_CYCLE_1)
	s_or_b32 s0, s0, vcc_lo
	s_and_saveexec_b32 s5, s0
	s_delay_alu instid0(SALU_CYCLE_1)
	s_xor_b32 s0, exec_lo, s5
; %bb.113:
	v_min_i32_e32 v8, 15, v9
	s_delay_alu instid0(VALU_DEP_1) | instskip(NEXT) | instid1(VALU_DEP_1)
	v_lshl_or_b32 v8, v8, 3, v17
                                        ; implicit-def: $vgpr17
	v_and_or_b32 v15, v7, 7, v8
; %bb.114:
	s_and_not1_saveexec_b32 s0, s0
; %bb.115:
	v_mov_b32_e32 v15, v17
; %bb.116:
	s_or_b32 exec_lo, exec_lo, s0
.LBB9_117:
	s_delay_alu instid0(SALU_CYCLE_1)
	s_or_b32 exec_lo, exec_lo, s4
.LBB9_118:
	s_and_not1_saveexec_b32 s0, s3
	s_delay_alu instid0(SALU_CYCLE_1)
	s_or_b32 exec_lo, exec_lo, s0
                                        ; implicit-def: $vgpr10
                                        ; implicit-def: $vgpr7_vgpr8
.LBB9_119:
	s_and_not1_saveexec_b32 s0, s2
; %bb.120:
	v_cmp_eq_u64_e32 vcc_lo, 0, v[7:8]
	v_or_b32_e32 v9, 0x7f, v10
	s_delay_alu instid0(VALU_DEP_1)
	v_cndmask_b32_e32 v15, v9, v15, vcc_lo
; %bb.121:
	s_or_b32 exec_lo, exec_lo, s0
	v_dual_mul_f32 v7, v14, v32 :: v_dual_mov_b32 v8, 0
	s_mov_b32 s0, 0xc3e00000
	s_delay_alu instid0(VALU_DEP_1) | instid1(SALU_CYCLE_1)
	v_maxmin_f32 v9, v7, s0, 0x43e00000
	s_mov_b32 s0, exec_lo
	s_delay_alu instid0(VALU_DEP_2) | instskip(NEXT) | instid1(VALU_DEP_2)
	v_mov_b32_e32 v20, v8
	v_lshrrev_b32_e32 v10, 24, v9
	v_and_b32_e32 v19, 0x7f800000, v9
	v_and_b32_e32 v7, 0x7fffff, v9
	s_delay_alu instid0(VALU_DEP_3) | instskip(NEXT) | instid1(VALU_DEP_1)
	v_and_b32_e32 v18, 0x80, v10
	v_or_b32_e32 v17, 0x7e, v18
	s_delay_alu instid0(VALU_DEP_4)
	v_cmpx_ne_u64_e32 0x7f800000, v[19:20]
	s_xor_b32 s2, exec_lo, s0
	s_cbranch_execz .LBB9_137
; %bb.122:
	v_dual_mov_b32 v20, v8 :: v_dual_and_b32 v19, 0x7fffffff, v9
	s_mov_b32 s0, exec_lo
	s_delay_alu instid0(VALU_DEP_1)
	v_cmpx_gt_u64_e32 0x43e00001, v[19:20]
	s_xor_b32 s3, exec_lo, s0
	s_cbranch_execz .LBB9_136
; %bb.123:
	v_mov_b32_e32 v17, 0
	s_mov_b32 s4, exec_lo
	v_cmpx_ne_u32_e32 0, v9
	s_cbranch_execz .LBB9_135
; %bb.124:
	v_bfe_u32 v17, v9, 23, 8
	v_or_b32_e32 v20, 0x800000, v7
	s_delay_alu instid0(VALU_DEP_2) | instskip(SKIP_1) | instid1(VALU_DEP_2)
	v_sub_nc_u32_e32 v9, 0x79, v17
	v_cmp_gt_u32_e32 vcc_lo, 0x7a, v17
	v_cndmask_b32_e32 v9, 0, v9, vcc_lo
	v_cmp_eq_u32_e32 vcc_lo, 0, v17
	s_delay_alu instid0(VALU_DEP_2) | instskip(SKIP_1) | instid1(VALU_DEP_2)
	v_cndmask_b32_e64 v19, v9, 0x78, vcc_lo
	v_cndmask_b32_e32 v7, v20, v7, vcc_lo
	v_add_nc_u32_e32 v20, 19, v19
	v_add_nc_u32_e32 v9, 20, v19
	s_delay_alu instid0(VALU_DEP_1) | instskip(NEXT) | instid1(VALU_DEP_1)
	v_lshlrev_b64 v[9:10], v9, -1
	v_not_b32_e32 v32, v10
	s_delay_alu instid0(VALU_DEP_2) | instskip(SKIP_1) | instid1(VALU_DEP_3)
	v_not_b32_e32 v34, v9
	v_lshlrev_b64 v[9:10], v20, 1
	v_and_b32_e32 v33, 0, v32
	s_delay_alu instid0(VALU_DEP_3) | instskip(SKIP_1) | instid1(VALU_DEP_2)
	v_and_b32_e32 v32, v7, v34
	v_lshrrev_b64 v[7:8], v19, v[7:8]
	v_cmp_eq_u64_e64 s0, v[32:33], v[9:10]
	s_delay_alu instid0(VALU_DEP_2) | instskip(NEXT) | instid1(VALU_DEP_2)
	v_dual_mov_b32 v10, v8 :: v_dual_mov_b32 v9, v7
	s_and_saveexec_b32 s5, s0
; %bb.125:
	v_bfe_u32 v9, v7, 20, 1
	s_delay_alu instid0(VALU_DEP_1) | instskip(NEXT) | instid1(VALU_DEP_1)
	v_add_co_u32 v9, s0, v7, v9
	v_add_co_u32 v9, s0, v9, -1
; %bb.126:
	s_or_b32 exec_lo, exec_lo, s5
	v_add_nc_u32_e32 v10, 0xffffff81, v17
	v_lshrrev_b32_e32 v17, 23, v7
	s_delay_alu instid0(VALU_DEP_3) | instskip(SKIP_1) | instid1(VALU_DEP_3)
	v_and_b32_e32 v9, 0xfffff, v9
	s_mov_b32 s0, exec_lo
	v_cndmask_b32_e64 v10, v10, 0xffffff82, vcc_lo
	s_delay_alu instid0(VALU_DEP_2) | instskip(SKIP_1) | instid1(VALU_DEP_3)
	v_add_co_u32 v7, vcc_lo, v9, v7
	v_add_co_ci_u32_e32 v8, vcc_lo, 0, v8, vcc_lo
	v_add3_u32 v10, v19, v10, v17
                                        ; implicit-def: $vgpr9
	s_delay_alu instid0(VALU_DEP_1) | instskip(NEXT) | instid1(VALU_DEP_1)
	v_add_nc_u32_e32 v17, 6, v10
	v_cmpx_ne_u32_e32 0, v17
	s_xor_b32 s0, exec_lo, s0
; %bb.127:
	v_cmp_lt_u64_e32 vcc_lo, 0xffffff, v[7:8]
	v_add_nc_u32_e32 v9, 7, v10
	v_cndmask_b32_e64 v10, 0, 1, vcc_lo
	s_delay_alu instid0(VALU_DEP_2) | instskip(NEXT) | instid1(VALU_DEP_2)
	v_cndmask_b32_e32 v9, v17, v9, vcc_lo
	v_lshrrev_b64 v[7:8], v10, v[7:8]
; %bb.128:
	s_and_not1_saveexec_b32 s0, s0
; %bb.129:
	s_delay_alu instid0(VALU_DEP_1)
	v_bfe_u32 v9, v7, 23, 1
; %bb.130:
	s_or_b32 exec_lo, exec_lo, s0
	s_delay_alu instid0(VALU_DEP_2) | instskip(NEXT) | instid1(VALU_DEP_2)
	v_lshrrev_b64 v[7:8], 20, v[7:8]
	v_cmp_gt_i32_e32 vcc_lo, 16, v9
	v_cmp_ne_u32_e64 s0, 0, v9
                                        ; implicit-def: $vgpr17
	s_delay_alu instid0(VALU_DEP_3) | instskip(NEXT) | instid1(VALU_DEP_1)
	v_dual_cndmask_b32 v8, 0, v8 :: v_dual_cndmask_b32 v7, 7, v7
	v_cmp_ne_u64_e32 vcc_lo, 0, v[7:8]
	s_delay_alu instid0(VALU_DEP_3) | instskip(NEXT) | instid1(SALU_CYCLE_1)
	s_or_b32 s0, s0, vcc_lo
	s_and_saveexec_b32 s5, s0
	s_delay_alu instid0(SALU_CYCLE_1)
	s_xor_b32 s0, exec_lo, s5
; %bb.131:
	v_min_i32_e32 v8, 15, v9
	s_delay_alu instid0(VALU_DEP_1) | instskip(NEXT) | instid1(VALU_DEP_1)
	v_lshl_or_b32 v8, v8, 3, v18
                                        ; implicit-def: $vgpr18
	v_and_or_b32 v17, v7, 7, v8
; %bb.132:
	s_and_not1_saveexec_b32 s0, s0
; %bb.133:
	v_mov_b32_e32 v17, v18
; %bb.134:
	s_or_b32 exec_lo, exec_lo, s0
.LBB9_135:
	s_delay_alu instid0(SALU_CYCLE_1)
	s_or_b32 exec_lo, exec_lo, s4
.LBB9_136:
	s_and_not1_saveexec_b32 s0, s3
	s_delay_alu instid0(SALU_CYCLE_1)
	s_or_b32 exec_lo, exec_lo, s0
                                        ; implicit-def: $vgpr10
                                        ; implicit-def: $vgpr7_vgpr8
.LBB9_137:
	s_and_not1_saveexec_b32 s0, s2
; %bb.138:
	v_cmp_eq_u64_e32 vcc_lo, 0, v[7:8]
	v_or_b32_e32 v9, 0x7f, v10
	s_delay_alu instid0(VALU_DEP_1)
	v_cndmask_b32_e32 v17, v9, v17, vcc_lo
; %bb.139:
	s_or_b32 exec_lo, exec_lo, s0
	v_dual_mul_f32 v7, v14, v31 :: v_dual_mov_b32 v8, 0
	s_mov_b32 s0, 0xc3e00000
	s_delay_alu instid0(VALU_DEP_1) | instid1(SALU_CYCLE_1)
	v_maxmin_f32 v9, v7, s0, 0x43e00000
	s_mov_b32 s0, exec_lo
	s_delay_alu instid0(VALU_DEP_2) | instskip(NEXT) | instid1(VALU_DEP_2)
	v_mov_b32_e32 v32, v8
	v_lshrrev_b32_e32 v10, 24, v9
	v_and_b32_e32 v31, 0x7f800000, v9
	v_and_b32_e32 v7, 0x7fffff, v9
	s_delay_alu instid0(VALU_DEP_3) | instskip(NEXT) | instid1(VALU_DEP_1)
	v_and_b32_e32 v19, 0x80, v10
	v_or_b32_e32 v18, 0x7e, v19
	s_delay_alu instid0(VALU_DEP_4)
	v_cmpx_ne_u64_e32 0x7f800000, v[31:32]
	s_xor_b32 s2, exec_lo, s0
	s_cbranch_execz .LBB9_155
; %bb.140:
	v_dual_mov_b32 v32, v8 :: v_dual_and_b32 v31, 0x7fffffff, v9
	s_mov_b32 s0, exec_lo
	s_delay_alu instid0(VALU_DEP_1)
	v_cmpx_gt_u64_e32 0x43e00001, v[31:32]
	s_xor_b32 s3, exec_lo, s0
	s_cbranch_execz .LBB9_154
; %bb.141:
	v_mov_b32_e32 v18, 0
	s_mov_b32 s4, exec_lo
	v_cmpx_ne_u32_e32 0, v9
	s_cbranch_execz .LBB9_153
; %bb.142:
	v_bfe_u32 v18, v9, 23, 8
	v_or_b32_e32 v31, 0x800000, v7
	s_delay_alu instid0(VALU_DEP_2) | instskip(SKIP_1) | instid1(VALU_DEP_2)
	v_sub_nc_u32_e32 v9, 0x79, v18
	v_cmp_gt_u32_e32 vcc_lo, 0x7a, v18
	v_cndmask_b32_e32 v9, 0, v9, vcc_lo
	v_cmp_eq_u32_e32 vcc_lo, 0, v18
	s_delay_alu instid0(VALU_DEP_2) | instskip(SKIP_1) | instid1(VALU_DEP_2)
	v_cndmask_b32_e64 v20, v9, 0x78, vcc_lo
	v_cndmask_b32_e32 v7, v31, v7, vcc_lo
	v_add_nc_u32_e32 v9, 20, v20
	v_add_nc_u32_e32 v31, 19, v20
	s_delay_alu instid0(VALU_DEP_2) | instskip(NEXT) | instid1(VALU_DEP_1)
	v_lshlrev_b64 v[9:10], v9, -1
	v_not_b32_e32 v33, v9
	s_delay_alu instid0(VALU_DEP_2) | instskip(NEXT) | instid1(VALU_DEP_4)
	v_not_b32_e32 v32, v10
	v_lshlrev_b64 v[9:10], v31, 1
	s_delay_alu instid0(VALU_DEP_3) | instskip(SKIP_1) | instid1(VALU_DEP_4)
	v_and_b32_e32 v31, v7, v33
	v_lshrrev_b64 v[7:8], v20, v[7:8]
	v_and_b32_e32 v32, 0, v32
	s_delay_alu instid0(VALU_DEP_1) | instskip(NEXT) | instid1(VALU_DEP_3)
	v_cmp_eq_u64_e64 s0, v[31:32], v[9:10]
	v_dual_mov_b32 v10, v8 :: v_dual_mov_b32 v9, v7
	s_delay_alu instid0(VALU_DEP_2)
	s_and_saveexec_b32 s5, s0
; %bb.143:
	v_bfe_u32 v9, v7, 20, 1
	s_delay_alu instid0(VALU_DEP_1) | instskip(NEXT) | instid1(VALU_DEP_1)
	v_add_co_u32 v9, s0, v7, v9
	v_add_co_u32 v9, s0, v9, -1
; %bb.144:
	s_or_b32 exec_lo, exec_lo, s5
	v_add_nc_u32_e32 v10, 0xffffff81, v18
	v_lshrrev_b32_e32 v18, 23, v7
	s_delay_alu instid0(VALU_DEP_3) | instskip(SKIP_1) | instid1(VALU_DEP_3)
	v_and_b32_e32 v9, 0xfffff, v9
	s_mov_b32 s0, exec_lo
	v_cndmask_b32_e64 v10, v10, 0xffffff82, vcc_lo
	s_delay_alu instid0(VALU_DEP_2) | instskip(SKIP_1) | instid1(VALU_DEP_3)
	v_add_co_u32 v7, vcc_lo, v9, v7
	v_add_co_ci_u32_e32 v8, vcc_lo, 0, v8, vcc_lo
	v_add3_u32 v10, v20, v10, v18
                                        ; implicit-def: $vgpr9
	s_delay_alu instid0(VALU_DEP_1) | instskip(NEXT) | instid1(VALU_DEP_1)
	v_add_nc_u32_e32 v18, 6, v10
	v_cmpx_ne_u32_e32 0, v18
	s_xor_b32 s0, exec_lo, s0
; %bb.145:
	v_cmp_lt_u64_e32 vcc_lo, 0xffffff, v[7:8]
	v_add_nc_u32_e32 v9, 7, v10
	v_cndmask_b32_e64 v10, 0, 1, vcc_lo
	s_delay_alu instid0(VALU_DEP_2) | instskip(NEXT) | instid1(VALU_DEP_2)
	v_cndmask_b32_e32 v9, v18, v9, vcc_lo
	v_lshrrev_b64 v[7:8], v10, v[7:8]
; %bb.146:
	s_and_not1_saveexec_b32 s0, s0
; %bb.147:
	s_delay_alu instid0(VALU_DEP_1)
	v_bfe_u32 v9, v7, 23, 1
; %bb.148:
	s_or_b32 exec_lo, exec_lo, s0
	s_delay_alu instid0(VALU_DEP_2) | instskip(NEXT) | instid1(VALU_DEP_2)
	v_lshrrev_b64 v[7:8], 20, v[7:8]
	v_cmp_gt_i32_e32 vcc_lo, 16, v9
	v_cmp_ne_u32_e64 s0, 0, v9
                                        ; implicit-def: $vgpr18
	s_delay_alu instid0(VALU_DEP_3) | instskip(NEXT) | instid1(VALU_DEP_1)
	v_dual_cndmask_b32 v8, 0, v8 :: v_dual_cndmask_b32 v7, 7, v7
	v_cmp_ne_u64_e32 vcc_lo, 0, v[7:8]
	s_delay_alu instid0(VALU_DEP_3) | instskip(NEXT) | instid1(SALU_CYCLE_1)
	s_or_b32 s0, s0, vcc_lo
	s_and_saveexec_b32 s5, s0
	s_delay_alu instid0(SALU_CYCLE_1)
	s_xor_b32 s0, exec_lo, s5
; %bb.149:
	v_min_i32_e32 v8, 15, v9
	s_delay_alu instid0(VALU_DEP_1) | instskip(NEXT) | instid1(VALU_DEP_1)
	v_lshl_or_b32 v8, v8, 3, v19
                                        ; implicit-def: $vgpr19
	v_and_or_b32 v18, v7, 7, v8
; %bb.150:
	s_and_not1_saveexec_b32 s0, s0
; %bb.151:
	v_mov_b32_e32 v18, v19
; %bb.152:
	s_or_b32 exec_lo, exec_lo, s0
.LBB9_153:
	s_delay_alu instid0(SALU_CYCLE_1)
	s_or_b32 exec_lo, exec_lo, s4
.LBB9_154:
	s_and_not1_saveexec_b32 s0, s3
	s_delay_alu instid0(SALU_CYCLE_1)
	s_or_b32 exec_lo, exec_lo, s0
                                        ; implicit-def: $vgpr10
                                        ; implicit-def: $vgpr7_vgpr8
.LBB9_155:
	s_and_not1_saveexec_b32 s0, s2
; %bb.156:
	v_cmp_eq_u64_e32 vcc_lo, 0, v[7:8]
	v_or_b32_e32 v9, 0x7f, v10
	s_delay_alu instid0(VALU_DEP_1)
	v_cndmask_b32_e32 v18, v9, v18, vcc_lo
; %bb.157:
	s_or_b32 exec_lo, exec_lo, s0
	v_dual_mul_f32 v7, v14, v30 :: v_dual_mov_b32 v8, 0
	s_mov_b32 s0, 0xc3e00000
	s_delay_alu instid0(VALU_DEP_1) | instid1(SALU_CYCLE_1)
	v_maxmin_f32 v9, v7, s0, 0x43e00000
	s_mov_b32 s0, exec_lo
	s_delay_alu instid0(VALU_DEP_2) | instskip(NEXT) | instid1(VALU_DEP_2)
	v_mov_b32_e32 v31, v8
	v_lshrrev_b32_e32 v10, 24, v9
	v_and_b32_e32 v30, 0x7f800000, v9
	v_and_b32_e32 v7, 0x7fffff, v9
	s_delay_alu instid0(VALU_DEP_3) | instskip(NEXT) | instid1(VALU_DEP_1)
	v_and_b32_e32 v20, 0x80, v10
	v_or_b32_e32 v19, 0x7e, v20
	s_delay_alu instid0(VALU_DEP_4)
	v_cmpx_ne_u64_e32 0x7f800000, v[30:31]
	s_xor_b32 s2, exec_lo, s0
	s_cbranch_execz .LBB9_173
; %bb.158:
	v_dual_mov_b32 v31, v8 :: v_dual_and_b32 v30, 0x7fffffff, v9
	s_mov_b32 s0, exec_lo
	s_delay_alu instid0(VALU_DEP_1)
	v_cmpx_gt_u64_e32 0x43e00001, v[30:31]
	s_xor_b32 s3, exec_lo, s0
	s_cbranch_execz .LBB9_172
; %bb.159:
	v_mov_b32_e32 v19, 0
	s_mov_b32 s4, exec_lo
	v_cmpx_ne_u32_e32 0, v9
	s_cbranch_execz .LBB9_171
; %bb.160:
	v_bfe_u32 v19, v9, 23, 8
	v_or_b32_e32 v31, 0x800000, v7
	s_delay_alu instid0(VALU_DEP_2) | instskip(SKIP_1) | instid1(VALU_DEP_2)
	v_sub_nc_u32_e32 v9, 0x79, v19
	v_cmp_gt_u32_e32 vcc_lo, 0x7a, v19
	v_cndmask_b32_e32 v9, 0, v9, vcc_lo
	v_cmp_eq_u32_e32 vcc_lo, 0, v19
	s_delay_alu instid0(VALU_DEP_2) | instskip(SKIP_1) | instid1(VALU_DEP_2)
	v_cndmask_b32_e64 v30, v9, 0x78, vcc_lo
	v_cndmask_b32_e32 v7, v31, v7, vcc_lo
	v_add_nc_u32_e32 v9, 20, v30
	v_add_nc_u32_e32 v31, 19, v30
	s_delay_alu instid0(VALU_DEP_2) | instskip(NEXT) | instid1(VALU_DEP_1)
	v_lshlrev_b64 v[9:10], v9, -1
	v_not_b32_e32 v33, v9
	s_delay_alu instid0(VALU_DEP_2) | instskip(NEXT) | instid1(VALU_DEP_4)
	v_not_b32_e32 v32, v10
	v_lshlrev_b64 v[9:10], v31, 1
	s_delay_alu instid0(VALU_DEP_3) | instskip(SKIP_1) | instid1(VALU_DEP_4)
	v_and_b32_e32 v31, v7, v33
	v_lshrrev_b64 v[7:8], v30, v[7:8]
	v_and_b32_e32 v32, 0, v32
	s_delay_alu instid0(VALU_DEP_1) | instskip(NEXT) | instid1(VALU_DEP_3)
	v_cmp_eq_u64_e64 s0, v[31:32], v[9:10]
	v_dual_mov_b32 v10, v8 :: v_dual_mov_b32 v9, v7
	s_delay_alu instid0(VALU_DEP_2)
	s_and_saveexec_b32 s5, s0
; %bb.161:
	v_bfe_u32 v9, v7, 20, 1
	s_delay_alu instid0(VALU_DEP_1) | instskip(NEXT) | instid1(VALU_DEP_1)
	v_add_co_u32 v9, s0, v7, v9
	v_add_co_u32 v9, s0, v9, -1
; %bb.162:
	s_or_b32 exec_lo, exec_lo, s5
	v_add_nc_u32_e32 v10, 0xffffff81, v19
	v_lshrrev_b32_e32 v19, 23, v7
	s_delay_alu instid0(VALU_DEP_3) | instskip(SKIP_1) | instid1(VALU_DEP_3)
	v_and_b32_e32 v9, 0xfffff, v9
	s_mov_b32 s0, exec_lo
	v_cndmask_b32_e64 v10, v10, 0xffffff82, vcc_lo
	s_delay_alu instid0(VALU_DEP_2) | instskip(SKIP_1) | instid1(VALU_DEP_3)
	v_add_co_u32 v7, vcc_lo, v9, v7
	v_add_co_ci_u32_e32 v8, vcc_lo, 0, v8, vcc_lo
	v_add3_u32 v10, v30, v10, v19
                                        ; implicit-def: $vgpr9
	s_delay_alu instid0(VALU_DEP_1) | instskip(NEXT) | instid1(VALU_DEP_1)
	v_add_nc_u32_e32 v19, 6, v10
	v_cmpx_ne_u32_e32 0, v19
	s_xor_b32 s0, exec_lo, s0
; %bb.163:
	v_cmp_lt_u64_e32 vcc_lo, 0xffffff, v[7:8]
	v_add_nc_u32_e32 v9, 7, v10
	v_cndmask_b32_e64 v10, 0, 1, vcc_lo
	s_delay_alu instid0(VALU_DEP_2) | instskip(NEXT) | instid1(VALU_DEP_2)
	v_cndmask_b32_e32 v9, v19, v9, vcc_lo
	v_lshrrev_b64 v[7:8], v10, v[7:8]
; %bb.164:
	s_and_not1_saveexec_b32 s0, s0
; %bb.165:
	s_delay_alu instid0(VALU_DEP_1)
	v_bfe_u32 v9, v7, 23, 1
; %bb.166:
	s_or_b32 exec_lo, exec_lo, s0
	s_delay_alu instid0(VALU_DEP_2) | instskip(NEXT) | instid1(VALU_DEP_2)
	v_lshrrev_b64 v[7:8], 20, v[7:8]
	v_cmp_gt_i32_e32 vcc_lo, 16, v9
	v_cmp_ne_u32_e64 s0, 0, v9
                                        ; implicit-def: $vgpr19
	s_delay_alu instid0(VALU_DEP_3) | instskip(NEXT) | instid1(VALU_DEP_1)
	v_dual_cndmask_b32 v8, 0, v8 :: v_dual_cndmask_b32 v7, 7, v7
	v_cmp_ne_u64_e32 vcc_lo, 0, v[7:8]
	s_delay_alu instid0(VALU_DEP_3) | instskip(NEXT) | instid1(SALU_CYCLE_1)
	s_or_b32 s0, s0, vcc_lo
	s_and_saveexec_b32 s5, s0
	s_delay_alu instid0(SALU_CYCLE_1)
	s_xor_b32 s0, exec_lo, s5
; %bb.167:
	v_min_i32_e32 v8, 15, v9
	s_delay_alu instid0(VALU_DEP_1) | instskip(NEXT) | instid1(VALU_DEP_1)
	v_lshl_or_b32 v8, v8, 3, v20
                                        ; implicit-def: $vgpr20
	v_and_or_b32 v19, v7, 7, v8
; %bb.168:
	s_and_not1_saveexec_b32 s0, s0
; %bb.169:
	v_mov_b32_e32 v19, v20
; %bb.170:
	s_or_b32 exec_lo, exec_lo, s0
.LBB9_171:
	s_delay_alu instid0(SALU_CYCLE_1)
	s_or_b32 exec_lo, exec_lo, s4
.LBB9_172:
	s_and_not1_saveexec_b32 s0, s3
	s_delay_alu instid0(SALU_CYCLE_1)
	s_or_b32 exec_lo, exec_lo, s0
                                        ; implicit-def: $vgpr10
                                        ; implicit-def: $vgpr7_vgpr8
.LBB9_173:
	s_and_not1_saveexec_b32 s0, s2
; %bb.174:
	v_cmp_eq_u64_e32 vcc_lo, 0, v[7:8]
	v_or_b32_e32 v9, 0x7f, v10
	s_delay_alu instid0(VALU_DEP_1)
	v_cndmask_b32_e32 v19, v9, v19, vcc_lo
; %bb.175:
	s_or_b32 exec_lo, exec_lo, s0
	v_dual_mul_f32 v7, v14, v29 :: v_dual_mov_b32 v8, 0
	s_mov_b32 s0, 0xc3e00000
	s_delay_alu instid0(VALU_DEP_1) | instid1(SALU_CYCLE_1)
	v_maxmin_f32 v9, v7, s0, 0x43e00000
	s_mov_b32 s0, exec_lo
	s_delay_alu instid0(VALU_DEP_2) | instskip(NEXT) | instid1(VALU_DEP_2)
	v_mov_b32_e32 v31, v8
	v_lshrrev_b32_e32 v10, 24, v9
	v_and_b32_e32 v30, 0x7f800000, v9
	v_and_b32_e32 v7, 0x7fffff, v9
	s_delay_alu instid0(VALU_DEP_3) | instskip(NEXT) | instid1(VALU_DEP_1)
	v_and_b32_e32 v29, 0x80, v10
	v_or_b32_e32 v20, 0x7e, v29
	s_delay_alu instid0(VALU_DEP_4)
	v_cmpx_ne_u64_e32 0x7f800000, v[30:31]
	s_xor_b32 s2, exec_lo, s0
	s_cbranch_execz .LBB9_191
; %bb.176:
	v_dual_mov_b32 v31, v8 :: v_dual_and_b32 v30, 0x7fffffff, v9
	s_mov_b32 s0, exec_lo
	s_delay_alu instid0(VALU_DEP_1)
	v_cmpx_gt_u64_e32 0x43e00001, v[30:31]
	s_xor_b32 s3, exec_lo, s0
	s_cbranch_execz .LBB9_190
; %bb.177:
	v_mov_b32_e32 v20, 0
	s_mov_b32 s4, exec_lo
	v_cmpx_ne_u32_e32 0, v9
	s_cbranch_execz .LBB9_189
; %bb.178:
	v_bfe_u32 v20, v9, 23, 8
	v_or_b32_e32 v31, 0x800000, v7
	s_delay_alu instid0(VALU_DEP_2) | instskip(SKIP_1) | instid1(VALU_DEP_2)
	v_sub_nc_u32_e32 v9, 0x79, v20
	v_cmp_gt_u32_e32 vcc_lo, 0x7a, v20
	v_cndmask_b32_e32 v9, 0, v9, vcc_lo
	v_cmp_eq_u32_e32 vcc_lo, 0, v20
	s_delay_alu instid0(VALU_DEP_2) | instskip(SKIP_1) | instid1(VALU_DEP_2)
	v_cndmask_b32_e64 v30, v9, 0x78, vcc_lo
	v_cndmask_b32_e32 v7, v31, v7, vcc_lo
	v_add_nc_u32_e32 v9, 20, v30
	v_add_nc_u32_e32 v31, 19, v30
	s_delay_alu instid0(VALU_DEP_2) | instskip(NEXT) | instid1(VALU_DEP_1)
	v_lshlrev_b64 v[9:10], v9, -1
	v_not_b32_e32 v33, v9
	s_delay_alu instid0(VALU_DEP_2) | instskip(NEXT) | instid1(VALU_DEP_4)
	v_not_b32_e32 v32, v10
	v_lshlrev_b64 v[9:10], v31, 1
	s_delay_alu instid0(VALU_DEP_3) | instskip(SKIP_1) | instid1(VALU_DEP_4)
	v_and_b32_e32 v31, v7, v33
	v_lshrrev_b64 v[7:8], v30, v[7:8]
	v_and_b32_e32 v32, 0, v32
	s_delay_alu instid0(VALU_DEP_1) | instskip(NEXT) | instid1(VALU_DEP_3)
	v_cmp_eq_u64_e64 s0, v[31:32], v[9:10]
	v_dual_mov_b32 v10, v8 :: v_dual_mov_b32 v9, v7
	s_delay_alu instid0(VALU_DEP_2)
	s_and_saveexec_b32 s5, s0
; %bb.179:
	v_bfe_u32 v9, v7, 20, 1
	s_delay_alu instid0(VALU_DEP_1) | instskip(NEXT) | instid1(VALU_DEP_1)
	v_add_co_u32 v9, s0, v7, v9
	v_add_co_u32 v9, s0, v9, -1
; %bb.180:
	s_or_b32 exec_lo, exec_lo, s5
	v_add_nc_u32_e32 v10, 0xffffff81, v20
	v_lshrrev_b32_e32 v20, 23, v7
	s_delay_alu instid0(VALU_DEP_3) | instskip(SKIP_1) | instid1(VALU_DEP_3)
	v_and_b32_e32 v9, 0xfffff, v9
	s_mov_b32 s0, exec_lo
	v_cndmask_b32_e64 v10, v10, 0xffffff82, vcc_lo
	s_delay_alu instid0(VALU_DEP_2) | instskip(SKIP_1) | instid1(VALU_DEP_3)
	v_add_co_u32 v7, vcc_lo, v9, v7
	v_add_co_ci_u32_e32 v8, vcc_lo, 0, v8, vcc_lo
	v_add3_u32 v10, v30, v10, v20
                                        ; implicit-def: $vgpr9
	s_delay_alu instid0(VALU_DEP_1) | instskip(NEXT) | instid1(VALU_DEP_1)
	v_add_nc_u32_e32 v20, 6, v10
	v_cmpx_ne_u32_e32 0, v20
	s_xor_b32 s0, exec_lo, s0
; %bb.181:
	v_cmp_lt_u64_e32 vcc_lo, 0xffffff, v[7:8]
	v_add_nc_u32_e32 v9, 7, v10
	v_cndmask_b32_e64 v10, 0, 1, vcc_lo
	s_delay_alu instid0(VALU_DEP_2) | instskip(NEXT) | instid1(VALU_DEP_2)
	v_cndmask_b32_e32 v9, v20, v9, vcc_lo
	v_lshrrev_b64 v[7:8], v10, v[7:8]
; %bb.182:
	s_and_not1_saveexec_b32 s0, s0
; %bb.183:
	s_delay_alu instid0(VALU_DEP_1)
	v_bfe_u32 v9, v7, 23, 1
; %bb.184:
	s_or_b32 exec_lo, exec_lo, s0
	s_delay_alu instid0(VALU_DEP_2) | instskip(NEXT) | instid1(VALU_DEP_2)
	v_lshrrev_b64 v[7:8], 20, v[7:8]
	v_cmp_gt_i32_e32 vcc_lo, 16, v9
	v_cmp_ne_u32_e64 s0, 0, v9
                                        ; implicit-def: $vgpr20
	s_delay_alu instid0(VALU_DEP_3) | instskip(NEXT) | instid1(VALU_DEP_1)
	v_dual_cndmask_b32 v8, 0, v8 :: v_dual_cndmask_b32 v7, 7, v7
	v_cmp_ne_u64_e32 vcc_lo, 0, v[7:8]
	s_delay_alu instid0(VALU_DEP_3) | instskip(NEXT) | instid1(SALU_CYCLE_1)
	s_or_b32 s0, s0, vcc_lo
	s_and_saveexec_b32 s5, s0
	s_delay_alu instid0(SALU_CYCLE_1)
	s_xor_b32 s0, exec_lo, s5
; %bb.185:
	v_min_i32_e32 v8, 15, v9
	s_delay_alu instid0(VALU_DEP_1) | instskip(NEXT) | instid1(VALU_DEP_1)
	v_lshl_or_b32 v8, v8, 3, v29
                                        ; implicit-def: $vgpr29
	v_and_or_b32 v20, v7, 7, v8
; %bb.186:
	s_and_not1_saveexec_b32 s0, s0
; %bb.187:
	v_mov_b32_e32 v20, v29
; %bb.188:
	s_or_b32 exec_lo, exec_lo, s0
.LBB9_189:
	s_delay_alu instid0(SALU_CYCLE_1)
	s_or_b32 exec_lo, exec_lo, s4
.LBB9_190:
	s_and_not1_saveexec_b32 s0, s3
	s_delay_alu instid0(SALU_CYCLE_1)
	s_or_b32 exec_lo, exec_lo, s0
                                        ; implicit-def: $vgpr10
                                        ; implicit-def: $vgpr7_vgpr8
.LBB9_191:
	s_and_not1_saveexec_b32 s0, s2
; %bb.192:
	v_cmp_eq_u64_e32 vcc_lo, 0, v[7:8]
	v_or_b32_e32 v9, 0x7f, v10
	s_delay_alu instid0(VALU_DEP_1)
	v_cndmask_b32_e32 v20, v9, v20, vcc_lo
; %bb.193:
	s_or_b32 exec_lo, exec_lo, s0
	v_dual_mul_f32 v7, v14, v26 :: v_dual_mov_b32 v8, 0
	s_mov_b32 s0, 0xc3e00000
	s_delay_alu instid0(VALU_DEP_1) | instid1(SALU_CYCLE_1)
	v_maxmin_f32 v9, v7, s0, 0x43e00000
	s_mov_b32 s0, exec_lo
	s_delay_alu instid0(VALU_DEP_2) | instskip(NEXT) | instid1(VALU_DEP_2)
	v_mov_b32_e32 v31, v8
	v_lshrrev_b32_e32 v10, 24, v9
	v_and_b32_e32 v30, 0x7f800000, v9
	v_and_b32_e32 v7, 0x7fffff, v9
	s_delay_alu instid0(VALU_DEP_3) | instskip(NEXT) | instid1(VALU_DEP_1)
	v_and_b32_e32 v29, 0x80, v10
	v_or_b32_e32 v26, 0x7e, v29
	s_delay_alu instid0(VALU_DEP_4)
	v_cmpx_ne_u64_e32 0x7f800000, v[30:31]
	s_xor_b32 s2, exec_lo, s0
	s_cbranch_execz .LBB9_209
; %bb.194:
	v_dual_mov_b32 v31, v8 :: v_dual_and_b32 v30, 0x7fffffff, v9
	s_mov_b32 s0, exec_lo
	s_delay_alu instid0(VALU_DEP_1)
	v_cmpx_gt_u64_e32 0x43e00001, v[30:31]
	s_xor_b32 s3, exec_lo, s0
	s_cbranch_execz .LBB9_208
; %bb.195:
	v_mov_b32_e32 v26, 0
	s_mov_b32 s4, exec_lo
	v_cmpx_ne_u32_e32 0, v9
	s_cbranch_execz .LBB9_207
; %bb.196:
	v_bfe_u32 v26, v9, 23, 8
	v_or_b32_e32 v31, 0x800000, v7
	s_delay_alu instid0(VALU_DEP_2) | instskip(SKIP_1) | instid1(VALU_DEP_2)
	v_sub_nc_u32_e32 v9, 0x79, v26
	v_cmp_gt_u32_e32 vcc_lo, 0x7a, v26
	v_cndmask_b32_e32 v9, 0, v9, vcc_lo
	v_cmp_eq_u32_e32 vcc_lo, 0, v26
	s_delay_alu instid0(VALU_DEP_2) | instskip(SKIP_1) | instid1(VALU_DEP_2)
	v_cndmask_b32_e64 v30, v9, 0x78, vcc_lo
	v_cndmask_b32_e32 v7, v31, v7, vcc_lo
	v_add_nc_u32_e32 v9, 20, v30
	v_add_nc_u32_e32 v31, 19, v30
	s_delay_alu instid0(VALU_DEP_2) | instskip(NEXT) | instid1(VALU_DEP_1)
	v_lshlrev_b64 v[9:10], v9, -1
	v_not_b32_e32 v33, v9
	s_delay_alu instid0(VALU_DEP_2) | instskip(NEXT) | instid1(VALU_DEP_4)
	v_not_b32_e32 v32, v10
	v_lshlrev_b64 v[9:10], v31, 1
	s_delay_alu instid0(VALU_DEP_3) | instskip(SKIP_1) | instid1(VALU_DEP_4)
	v_and_b32_e32 v31, v7, v33
	v_lshrrev_b64 v[7:8], v30, v[7:8]
	v_and_b32_e32 v32, 0, v32
	s_delay_alu instid0(VALU_DEP_1) | instskip(NEXT) | instid1(VALU_DEP_3)
	v_cmp_eq_u64_e64 s0, v[31:32], v[9:10]
	v_dual_mov_b32 v10, v8 :: v_dual_mov_b32 v9, v7
	s_delay_alu instid0(VALU_DEP_2)
	s_and_saveexec_b32 s5, s0
; %bb.197:
	v_bfe_u32 v9, v7, 20, 1
	s_delay_alu instid0(VALU_DEP_1) | instskip(NEXT) | instid1(VALU_DEP_1)
	v_add_co_u32 v9, s0, v7, v9
	v_add_co_u32 v9, s0, v9, -1
; %bb.198:
	s_or_b32 exec_lo, exec_lo, s5
	v_add_nc_u32_e32 v10, 0xffffff81, v26
	v_lshrrev_b32_e32 v26, 23, v7
	s_delay_alu instid0(VALU_DEP_3) | instskip(SKIP_1) | instid1(VALU_DEP_3)
	v_and_b32_e32 v9, 0xfffff, v9
	s_mov_b32 s0, exec_lo
	v_cndmask_b32_e64 v10, v10, 0xffffff82, vcc_lo
	s_delay_alu instid0(VALU_DEP_2) | instskip(SKIP_1) | instid1(VALU_DEP_3)
	v_add_co_u32 v7, vcc_lo, v9, v7
	v_add_co_ci_u32_e32 v8, vcc_lo, 0, v8, vcc_lo
	v_add3_u32 v10, v30, v10, v26
                                        ; implicit-def: $vgpr9
	s_delay_alu instid0(VALU_DEP_1) | instskip(NEXT) | instid1(VALU_DEP_1)
	v_add_nc_u32_e32 v26, 6, v10
	v_cmpx_ne_u32_e32 0, v26
	s_xor_b32 s0, exec_lo, s0
; %bb.199:
	v_cmp_lt_u64_e32 vcc_lo, 0xffffff, v[7:8]
	v_add_nc_u32_e32 v9, 7, v10
	v_cndmask_b32_e64 v10, 0, 1, vcc_lo
	s_delay_alu instid0(VALU_DEP_2) | instskip(NEXT) | instid1(VALU_DEP_2)
	v_cndmask_b32_e32 v9, v26, v9, vcc_lo
	v_lshrrev_b64 v[7:8], v10, v[7:8]
; %bb.200:
	s_and_not1_saveexec_b32 s0, s0
; %bb.201:
	s_delay_alu instid0(VALU_DEP_1)
	v_bfe_u32 v9, v7, 23, 1
; %bb.202:
	s_or_b32 exec_lo, exec_lo, s0
	s_delay_alu instid0(VALU_DEP_2) | instskip(NEXT) | instid1(VALU_DEP_2)
	v_lshrrev_b64 v[7:8], 20, v[7:8]
	v_cmp_gt_i32_e32 vcc_lo, 16, v9
	v_cmp_ne_u32_e64 s0, 0, v9
                                        ; implicit-def: $vgpr26
	s_delay_alu instid0(VALU_DEP_3) | instskip(NEXT) | instid1(VALU_DEP_1)
	v_dual_cndmask_b32 v8, 0, v8 :: v_dual_cndmask_b32 v7, 7, v7
	v_cmp_ne_u64_e32 vcc_lo, 0, v[7:8]
	s_delay_alu instid0(VALU_DEP_3) | instskip(NEXT) | instid1(SALU_CYCLE_1)
	s_or_b32 s0, s0, vcc_lo
	s_and_saveexec_b32 s5, s0
	s_delay_alu instid0(SALU_CYCLE_1)
	s_xor_b32 s0, exec_lo, s5
; %bb.203:
	v_min_i32_e32 v8, 15, v9
	s_delay_alu instid0(VALU_DEP_1) | instskip(NEXT) | instid1(VALU_DEP_1)
	v_lshl_or_b32 v8, v8, 3, v29
                                        ; implicit-def: $vgpr29
	v_and_or_b32 v26, v7, 7, v8
; %bb.204:
	s_and_not1_saveexec_b32 s0, s0
; %bb.205:
	v_mov_b32_e32 v26, v29
; %bb.206:
	s_or_b32 exec_lo, exec_lo, s0
.LBB9_207:
	s_delay_alu instid0(SALU_CYCLE_1)
	s_or_b32 exec_lo, exec_lo, s4
.LBB9_208:
	s_and_not1_saveexec_b32 s0, s3
	s_delay_alu instid0(SALU_CYCLE_1)
	s_or_b32 exec_lo, exec_lo, s0
                                        ; implicit-def: $vgpr10
                                        ; implicit-def: $vgpr7_vgpr8
.LBB9_209:
	s_and_not1_saveexec_b32 s0, s2
; %bb.210:
	v_cmp_eq_u64_e32 vcc_lo, 0, v[7:8]
	v_or_b32_e32 v9, 0x7f, v10
	s_delay_alu instid0(VALU_DEP_1)
	v_cndmask_b32_e32 v26, v9, v26, vcc_lo
; %bb.211:
	s_or_b32 exec_lo, exec_lo, s0
	v_dual_mul_f32 v7, v14, v28 :: v_dual_mov_b32 v8, 0
	s_mov_b32 s0, 0xc3e00000
	s_delay_alu instid0(VALU_DEP_1) | instid1(SALU_CYCLE_1)
	v_maxmin_f32 v9, v7, s0, 0x43e00000
	s_mov_b32 s0, exec_lo
	s_delay_alu instid0(VALU_DEP_2) | instskip(NEXT) | instid1(VALU_DEP_2)
	v_mov_b32_e32 v31, v8
	v_lshrrev_b32_e32 v10, 24, v9
	v_and_b32_e32 v30, 0x7f800000, v9
	v_and_b32_e32 v7, 0x7fffff, v9
	s_delay_alu instid0(VALU_DEP_3) | instskip(NEXT) | instid1(VALU_DEP_1)
	v_and_b32_e32 v29, 0x80, v10
	v_or_b32_e32 v28, 0x7e, v29
	s_delay_alu instid0(VALU_DEP_4)
	v_cmpx_ne_u64_e32 0x7f800000, v[30:31]
	s_xor_b32 s2, exec_lo, s0
	s_cbranch_execz .LBB9_227
; %bb.212:
	v_dual_mov_b32 v31, v8 :: v_dual_and_b32 v30, 0x7fffffff, v9
	s_mov_b32 s0, exec_lo
	s_delay_alu instid0(VALU_DEP_1)
	v_cmpx_gt_u64_e32 0x43e00001, v[30:31]
	s_xor_b32 s3, exec_lo, s0
	s_cbranch_execz .LBB9_226
; %bb.213:
	v_mov_b32_e32 v28, 0
	s_mov_b32 s4, exec_lo
	v_cmpx_ne_u32_e32 0, v9
	s_cbranch_execz .LBB9_225
; %bb.214:
	v_bfe_u32 v28, v9, 23, 8
	v_or_b32_e32 v31, 0x800000, v7
	s_delay_alu instid0(VALU_DEP_2) | instskip(SKIP_1) | instid1(VALU_DEP_2)
	v_sub_nc_u32_e32 v9, 0x79, v28
	v_cmp_gt_u32_e32 vcc_lo, 0x7a, v28
	v_cndmask_b32_e32 v9, 0, v9, vcc_lo
	v_cmp_eq_u32_e32 vcc_lo, 0, v28
	s_delay_alu instid0(VALU_DEP_2) | instskip(SKIP_1) | instid1(VALU_DEP_2)
	v_cndmask_b32_e64 v30, v9, 0x78, vcc_lo
	v_cndmask_b32_e32 v7, v31, v7, vcc_lo
	v_add_nc_u32_e32 v9, 20, v30
	v_add_nc_u32_e32 v31, 19, v30
	s_delay_alu instid0(VALU_DEP_2) | instskip(NEXT) | instid1(VALU_DEP_1)
	v_lshlrev_b64 v[9:10], v9, -1
	v_not_b32_e32 v33, v9
	s_delay_alu instid0(VALU_DEP_2) | instskip(NEXT) | instid1(VALU_DEP_4)
	v_not_b32_e32 v32, v10
	v_lshlrev_b64 v[9:10], v31, 1
	s_delay_alu instid0(VALU_DEP_3) | instskip(SKIP_1) | instid1(VALU_DEP_4)
	v_and_b32_e32 v31, v7, v33
	v_lshrrev_b64 v[7:8], v30, v[7:8]
	v_and_b32_e32 v32, 0, v32
	s_delay_alu instid0(VALU_DEP_1) | instskip(NEXT) | instid1(VALU_DEP_3)
	v_cmp_eq_u64_e64 s0, v[31:32], v[9:10]
	v_dual_mov_b32 v10, v8 :: v_dual_mov_b32 v9, v7
	s_delay_alu instid0(VALU_DEP_2)
	s_and_saveexec_b32 s5, s0
; %bb.215:
	v_bfe_u32 v9, v7, 20, 1
	s_delay_alu instid0(VALU_DEP_1) | instskip(NEXT) | instid1(VALU_DEP_1)
	v_add_co_u32 v9, s0, v7, v9
	v_add_co_u32 v9, s0, v9, -1
; %bb.216:
	s_or_b32 exec_lo, exec_lo, s5
	v_add_nc_u32_e32 v10, 0xffffff81, v28
	v_lshrrev_b32_e32 v28, 23, v7
	s_delay_alu instid0(VALU_DEP_3) | instskip(SKIP_1) | instid1(VALU_DEP_3)
	v_and_b32_e32 v9, 0xfffff, v9
	s_mov_b32 s0, exec_lo
	v_cndmask_b32_e64 v10, v10, 0xffffff82, vcc_lo
	s_delay_alu instid0(VALU_DEP_2) | instskip(SKIP_1) | instid1(VALU_DEP_3)
	v_add_co_u32 v7, vcc_lo, v9, v7
	v_add_co_ci_u32_e32 v8, vcc_lo, 0, v8, vcc_lo
	v_add3_u32 v10, v30, v10, v28
                                        ; implicit-def: $vgpr9
	s_delay_alu instid0(VALU_DEP_1) | instskip(NEXT) | instid1(VALU_DEP_1)
	v_add_nc_u32_e32 v28, 6, v10
	v_cmpx_ne_u32_e32 0, v28
	s_xor_b32 s0, exec_lo, s0
; %bb.217:
	v_cmp_lt_u64_e32 vcc_lo, 0xffffff, v[7:8]
	v_add_nc_u32_e32 v9, 7, v10
	v_cndmask_b32_e64 v10, 0, 1, vcc_lo
	s_delay_alu instid0(VALU_DEP_2) | instskip(NEXT) | instid1(VALU_DEP_2)
	v_cndmask_b32_e32 v9, v28, v9, vcc_lo
	v_lshrrev_b64 v[7:8], v10, v[7:8]
; %bb.218:
	s_and_not1_saveexec_b32 s0, s0
; %bb.219:
	s_delay_alu instid0(VALU_DEP_1)
	v_bfe_u32 v9, v7, 23, 1
; %bb.220:
	s_or_b32 exec_lo, exec_lo, s0
	s_delay_alu instid0(VALU_DEP_2) | instskip(NEXT) | instid1(VALU_DEP_2)
	v_lshrrev_b64 v[7:8], 20, v[7:8]
	v_cmp_gt_i32_e32 vcc_lo, 16, v9
	v_cmp_ne_u32_e64 s0, 0, v9
                                        ; implicit-def: $vgpr28
	s_delay_alu instid0(VALU_DEP_3) | instskip(NEXT) | instid1(VALU_DEP_1)
	v_dual_cndmask_b32 v8, 0, v8 :: v_dual_cndmask_b32 v7, 7, v7
	v_cmp_ne_u64_e32 vcc_lo, 0, v[7:8]
	s_delay_alu instid0(VALU_DEP_3) | instskip(NEXT) | instid1(SALU_CYCLE_1)
	s_or_b32 s0, s0, vcc_lo
	s_and_saveexec_b32 s5, s0
	s_delay_alu instid0(SALU_CYCLE_1)
	s_xor_b32 s0, exec_lo, s5
; %bb.221:
	v_min_i32_e32 v8, 15, v9
	s_delay_alu instid0(VALU_DEP_1) | instskip(NEXT) | instid1(VALU_DEP_1)
	v_lshl_or_b32 v8, v8, 3, v29
                                        ; implicit-def: $vgpr29
	v_and_or_b32 v28, v7, 7, v8
; %bb.222:
	s_and_not1_saveexec_b32 s0, s0
; %bb.223:
	v_mov_b32_e32 v28, v29
; %bb.224:
	s_or_b32 exec_lo, exec_lo, s0
.LBB9_225:
	s_delay_alu instid0(SALU_CYCLE_1)
	s_or_b32 exec_lo, exec_lo, s4
.LBB9_226:
	s_and_not1_saveexec_b32 s0, s3
	s_delay_alu instid0(SALU_CYCLE_1)
	s_or_b32 exec_lo, exec_lo, s0
                                        ; implicit-def: $vgpr10
                                        ; implicit-def: $vgpr7_vgpr8
.LBB9_227:
	s_and_not1_saveexec_b32 s0, s2
; %bb.228:
	v_cmp_eq_u64_e32 vcc_lo, 0, v[7:8]
	v_or_b32_e32 v9, 0x7f, v10
	s_delay_alu instid0(VALU_DEP_1)
	v_cndmask_b32_e32 v28, v9, v28, vcc_lo
; %bb.229:
	s_or_b32 exec_lo, exec_lo, s0
	v_dual_mul_f32 v7, v14, v27 :: v_dual_mov_b32 v8, 0
	s_mov_b32 s0, 0xc3e00000
	s_delay_alu instid0(VALU_DEP_1) | instid1(SALU_CYCLE_1)
	v_maxmin_f32 v9, v7, s0, 0x43e00000
	s_mov_b32 s0, exec_lo
	s_delay_alu instid0(VALU_DEP_2) | instskip(NEXT) | instid1(VALU_DEP_2)
	v_mov_b32_e32 v31, v8
	v_lshrrev_b32_e32 v10, 24, v9
	v_and_b32_e32 v30, 0x7f800000, v9
	v_and_b32_e32 v7, 0x7fffff, v9
	s_delay_alu instid0(VALU_DEP_3) | instskip(NEXT) | instid1(VALU_DEP_1)
	v_and_b32_e32 v29, 0x80, v10
	v_or_b32_e32 v27, 0x7e, v29
	s_delay_alu instid0(VALU_DEP_4)
	v_cmpx_ne_u64_e32 0x7f800000, v[30:31]
	s_xor_b32 s2, exec_lo, s0
	s_cbranch_execz .LBB9_245
; %bb.230:
	v_dual_mov_b32 v31, v8 :: v_dual_and_b32 v30, 0x7fffffff, v9
	s_mov_b32 s0, exec_lo
	s_delay_alu instid0(VALU_DEP_1)
	v_cmpx_gt_u64_e32 0x43e00001, v[30:31]
	s_xor_b32 s3, exec_lo, s0
	s_cbranch_execz .LBB9_244
; %bb.231:
	v_mov_b32_e32 v27, 0
	s_mov_b32 s4, exec_lo
	v_cmpx_ne_u32_e32 0, v9
	s_cbranch_execz .LBB9_243
; %bb.232:
	v_bfe_u32 v27, v9, 23, 8
	v_or_b32_e32 v31, 0x800000, v7
	s_delay_alu instid0(VALU_DEP_2) | instskip(SKIP_1) | instid1(VALU_DEP_2)
	v_sub_nc_u32_e32 v9, 0x79, v27
	v_cmp_gt_u32_e32 vcc_lo, 0x7a, v27
	v_cndmask_b32_e32 v9, 0, v9, vcc_lo
	v_cmp_eq_u32_e32 vcc_lo, 0, v27
	s_delay_alu instid0(VALU_DEP_2) | instskip(SKIP_1) | instid1(VALU_DEP_2)
	v_cndmask_b32_e64 v30, v9, 0x78, vcc_lo
	v_cndmask_b32_e32 v7, v31, v7, vcc_lo
	v_add_nc_u32_e32 v9, 20, v30
	v_add_nc_u32_e32 v31, 19, v30
	s_delay_alu instid0(VALU_DEP_2) | instskip(NEXT) | instid1(VALU_DEP_1)
	v_lshlrev_b64 v[9:10], v9, -1
	v_not_b32_e32 v33, v9
	s_delay_alu instid0(VALU_DEP_2) | instskip(NEXT) | instid1(VALU_DEP_4)
	v_not_b32_e32 v32, v10
	v_lshlrev_b64 v[9:10], v31, 1
	s_delay_alu instid0(VALU_DEP_3) | instskip(SKIP_1) | instid1(VALU_DEP_4)
	v_and_b32_e32 v31, v7, v33
	v_lshrrev_b64 v[7:8], v30, v[7:8]
	v_and_b32_e32 v32, 0, v32
	s_delay_alu instid0(VALU_DEP_1) | instskip(NEXT) | instid1(VALU_DEP_3)
	v_cmp_eq_u64_e64 s0, v[31:32], v[9:10]
	v_dual_mov_b32 v10, v8 :: v_dual_mov_b32 v9, v7
	s_delay_alu instid0(VALU_DEP_2)
	s_and_saveexec_b32 s5, s0
; %bb.233:
	v_bfe_u32 v9, v7, 20, 1
	s_delay_alu instid0(VALU_DEP_1) | instskip(NEXT) | instid1(VALU_DEP_1)
	v_add_co_u32 v9, s0, v7, v9
	v_add_co_u32 v9, s0, v9, -1
; %bb.234:
	s_or_b32 exec_lo, exec_lo, s5
	v_add_nc_u32_e32 v10, 0xffffff81, v27
	v_lshrrev_b32_e32 v27, 23, v7
	s_delay_alu instid0(VALU_DEP_3) | instskip(SKIP_1) | instid1(VALU_DEP_3)
	v_and_b32_e32 v9, 0xfffff, v9
	s_mov_b32 s0, exec_lo
	v_cndmask_b32_e64 v10, v10, 0xffffff82, vcc_lo
	s_delay_alu instid0(VALU_DEP_2) | instskip(SKIP_1) | instid1(VALU_DEP_3)
	v_add_co_u32 v7, vcc_lo, v9, v7
	v_add_co_ci_u32_e32 v8, vcc_lo, 0, v8, vcc_lo
	v_add3_u32 v10, v30, v10, v27
                                        ; implicit-def: $vgpr9
	s_delay_alu instid0(VALU_DEP_1) | instskip(NEXT) | instid1(VALU_DEP_1)
	v_add_nc_u32_e32 v27, 6, v10
	v_cmpx_ne_u32_e32 0, v27
	s_xor_b32 s0, exec_lo, s0
; %bb.235:
	v_cmp_lt_u64_e32 vcc_lo, 0xffffff, v[7:8]
	v_add_nc_u32_e32 v9, 7, v10
	v_cndmask_b32_e64 v10, 0, 1, vcc_lo
	s_delay_alu instid0(VALU_DEP_2) | instskip(NEXT) | instid1(VALU_DEP_2)
	v_cndmask_b32_e32 v9, v27, v9, vcc_lo
	v_lshrrev_b64 v[7:8], v10, v[7:8]
; %bb.236:
	s_and_not1_saveexec_b32 s0, s0
; %bb.237:
	s_delay_alu instid0(VALU_DEP_1)
	v_bfe_u32 v9, v7, 23, 1
; %bb.238:
	s_or_b32 exec_lo, exec_lo, s0
	s_delay_alu instid0(VALU_DEP_2) | instskip(NEXT) | instid1(VALU_DEP_2)
	v_lshrrev_b64 v[7:8], 20, v[7:8]
	v_cmp_gt_i32_e32 vcc_lo, 16, v9
	v_cmp_ne_u32_e64 s0, 0, v9
                                        ; implicit-def: $vgpr27
	s_delay_alu instid0(VALU_DEP_3) | instskip(NEXT) | instid1(VALU_DEP_1)
	v_dual_cndmask_b32 v8, 0, v8 :: v_dual_cndmask_b32 v7, 7, v7
	v_cmp_ne_u64_e32 vcc_lo, 0, v[7:8]
	s_delay_alu instid0(VALU_DEP_3) | instskip(NEXT) | instid1(SALU_CYCLE_1)
	s_or_b32 s0, s0, vcc_lo
	s_and_saveexec_b32 s5, s0
	s_delay_alu instid0(SALU_CYCLE_1)
	s_xor_b32 s0, exec_lo, s5
; %bb.239:
	v_min_i32_e32 v8, 15, v9
	s_delay_alu instid0(VALU_DEP_1) | instskip(NEXT) | instid1(VALU_DEP_1)
	v_lshl_or_b32 v8, v8, 3, v29
                                        ; implicit-def: $vgpr29
	v_and_or_b32 v27, v7, 7, v8
; %bb.240:
	s_and_not1_saveexec_b32 s0, s0
; %bb.241:
	v_mov_b32_e32 v27, v29
; %bb.242:
	s_or_b32 exec_lo, exec_lo, s0
.LBB9_243:
	s_delay_alu instid0(SALU_CYCLE_1)
	s_or_b32 exec_lo, exec_lo, s4
.LBB9_244:
	s_and_not1_saveexec_b32 s0, s3
	s_delay_alu instid0(SALU_CYCLE_1)
	s_or_b32 exec_lo, exec_lo, s0
                                        ; implicit-def: $vgpr10
                                        ; implicit-def: $vgpr7_vgpr8
.LBB9_245:
	s_and_not1_saveexec_b32 s0, s2
; %bb.246:
	v_cmp_eq_u64_e32 vcc_lo, 0, v[7:8]
	v_or_b32_e32 v9, 0x7f, v10
	s_delay_alu instid0(VALU_DEP_1)
	v_cndmask_b32_e32 v27, v9, v27, vcc_lo
; %bb.247:
	s_or_b32 exec_lo, exec_lo, s0
	v_dual_mul_f32 v7, v14, v25 :: v_dual_mov_b32 v8, 0
	s_mov_b32 s0, 0xc3e00000
	s_delay_alu instid0(VALU_DEP_1) | instid1(SALU_CYCLE_1)
	v_maxmin_f32 v9, v7, s0, 0x43e00000
	s_mov_b32 s0, exec_lo
	s_delay_alu instid0(VALU_DEP_2) | instskip(NEXT) | instid1(VALU_DEP_2)
	v_mov_b32_e32 v31, v8
	v_lshrrev_b32_e32 v10, 24, v9
	v_and_b32_e32 v30, 0x7f800000, v9
	v_and_b32_e32 v7, 0x7fffff, v9
	s_delay_alu instid0(VALU_DEP_3) | instskip(NEXT) | instid1(VALU_DEP_1)
	v_and_b32_e32 v29, 0x80, v10
	v_or_b32_e32 v25, 0x7e, v29
	s_delay_alu instid0(VALU_DEP_4)
	v_cmpx_ne_u64_e32 0x7f800000, v[30:31]
	s_xor_b32 s2, exec_lo, s0
	s_cbranch_execz .LBB9_263
; %bb.248:
	v_dual_mov_b32 v31, v8 :: v_dual_and_b32 v30, 0x7fffffff, v9
	s_mov_b32 s0, exec_lo
	s_delay_alu instid0(VALU_DEP_1)
	v_cmpx_gt_u64_e32 0x43e00001, v[30:31]
	s_xor_b32 s3, exec_lo, s0
	s_cbranch_execz .LBB9_262
; %bb.249:
	v_mov_b32_e32 v25, 0
	s_mov_b32 s4, exec_lo
	v_cmpx_ne_u32_e32 0, v9
	s_cbranch_execz .LBB9_261
; %bb.250:
	v_bfe_u32 v25, v9, 23, 8
	v_or_b32_e32 v31, 0x800000, v7
	s_delay_alu instid0(VALU_DEP_2) | instskip(SKIP_1) | instid1(VALU_DEP_2)
	v_sub_nc_u32_e32 v9, 0x79, v25
	v_cmp_gt_u32_e32 vcc_lo, 0x7a, v25
	v_cndmask_b32_e32 v9, 0, v9, vcc_lo
	v_cmp_eq_u32_e32 vcc_lo, 0, v25
	s_delay_alu instid0(VALU_DEP_2) | instskip(SKIP_1) | instid1(VALU_DEP_2)
	v_cndmask_b32_e64 v30, v9, 0x78, vcc_lo
	v_cndmask_b32_e32 v7, v31, v7, vcc_lo
	v_add_nc_u32_e32 v9, 20, v30
	v_add_nc_u32_e32 v31, 19, v30
	s_delay_alu instid0(VALU_DEP_2) | instskip(NEXT) | instid1(VALU_DEP_1)
	v_lshlrev_b64 v[9:10], v9, -1
	v_not_b32_e32 v33, v9
	s_delay_alu instid0(VALU_DEP_2) | instskip(NEXT) | instid1(VALU_DEP_4)
	v_not_b32_e32 v32, v10
	v_lshlrev_b64 v[9:10], v31, 1
	s_delay_alu instid0(VALU_DEP_3) | instskip(SKIP_1) | instid1(VALU_DEP_4)
	v_and_b32_e32 v31, v7, v33
	v_lshrrev_b64 v[7:8], v30, v[7:8]
	v_and_b32_e32 v32, 0, v32
	s_delay_alu instid0(VALU_DEP_1) | instskip(NEXT) | instid1(VALU_DEP_3)
	v_cmp_eq_u64_e64 s0, v[31:32], v[9:10]
	v_dual_mov_b32 v10, v8 :: v_dual_mov_b32 v9, v7
	s_delay_alu instid0(VALU_DEP_2)
	s_and_saveexec_b32 s5, s0
; %bb.251:
	v_bfe_u32 v9, v7, 20, 1
	s_delay_alu instid0(VALU_DEP_1) | instskip(NEXT) | instid1(VALU_DEP_1)
	v_add_co_u32 v9, s0, v7, v9
	v_add_co_u32 v9, s0, v9, -1
; %bb.252:
	s_or_b32 exec_lo, exec_lo, s5
	v_add_nc_u32_e32 v10, 0xffffff81, v25
	v_lshrrev_b32_e32 v25, 23, v7
	s_delay_alu instid0(VALU_DEP_3) | instskip(SKIP_1) | instid1(VALU_DEP_3)
	v_and_b32_e32 v9, 0xfffff, v9
	s_mov_b32 s0, exec_lo
	v_cndmask_b32_e64 v10, v10, 0xffffff82, vcc_lo
	s_delay_alu instid0(VALU_DEP_2) | instskip(SKIP_1) | instid1(VALU_DEP_3)
	v_add_co_u32 v7, vcc_lo, v9, v7
	v_add_co_ci_u32_e32 v8, vcc_lo, 0, v8, vcc_lo
	v_add3_u32 v10, v30, v10, v25
                                        ; implicit-def: $vgpr9
	s_delay_alu instid0(VALU_DEP_1) | instskip(NEXT) | instid1(VALU_DEP_1)
	v_add_nc_u32_e32 v25, 6, v10
	v_cmpx_ne_u32_e32 0, v25
	s_xor_b32 s0, exec_lo, s0
; %bb.253:
	v_cmp_lt_u64_e32 vcc_lo, 0xffffff, v[7:8]
	v_add_nc_u32_e32 v9, 7, v10
	v_cndmask_b32_e64 v10, 0, 1, vcc_lo
	s_delay_alu instid0(VALU_DEP_2) | instskip(NEXT) | instid1(VALU_DEP_2)
	v_cndmask_b32_e32 v9, v25, v9, vcc_lo
	v_lshrrev_b64 v[7:8], v10, v[7:8]
; %bb.254:
	s_and_not1_saveexec_b32 s0, s0
; %bb.255:
	s_delay_alu instid0(VALU_DEP_1)
	v_bfe_u32 v9, v7, 23, 1
; %bb.256:
	s_or_b32 exec_lo, exec_lo, s0
	s_delay_alu instid0(VALU_DEP_2) | instskip(NEXT) | instid1(VALU_DEP_2)
	v_lshrrev_b64 v[7:8], 20, v[7:8]
	v_cmp_gt_i32_e32 vcc_lo, 16, v9
	v_cmp_ne_u32_e64 s0, 0, v9
                                        ; implicit-def: $vgpr25
	s_delay_alu instid0(VALU_DEP_3) | instskip(NEXT) | instid1(VALU_DEP_1)
	v_dual_cndmask_b32 v8, 0, v8 :: v_dual_cndmask_b32 v7, 7, v7
	v_cmp_ne_u64_e32 vcc_lo, 0, v[7:8]
	s_delay_alu instid0(VALU_DEP_3) | instskip(NEXT) | instid1(SALU_CYCLE_1)
	s_or_b32 s0, s0, vcc_lo
	s_and_saveexec_b32 s5, s0
	s_delay_alu instid0(SALU_CYCLE_1)
	s_xor_b32 s0, exec_lo, s5
; %bb.257:
	v_min_i32_e32 v8, 15, v9
	s_delay_alu instid0(VALU_DEP_1) | instskip(NEXT) | instid1(VALU_DEP_1)
	v_lshl_or_b32 v8, v8, 3, v29
                                        ; implicit-def: $vgpr29
	v_and_or_b32 v25, v7, 7, v8
; %bb.258:
	s_and_not1_saveexec_b32 s0, s0
; %bb.259:
	v_mov_b32_e32 v25, v29
; %bb.260:
	s_or_b32 exec_lo, exec_lo, s0
.LBB9_261:
	s_delay_alu instid0(SALU_CYCLE_1)
	s_or_b32 exec_lo, exec_lo, s4
.LBB9_262:
	s_and_not1_saveexec_b32 s0, s3
	s_delay_alu instid0(SALU_CYCLE_1)
	s_or_b32 exec_lo, exec_lo, s0
                                        ; implicit-def: $vgpr10
                                        ; implicit-def: $vgpr7_vgpr8
.LBB9_263:
	s_and_not1_saveexec_b32 s0, s2
; %bb.264:
	v_cmp_eq_u64_e32 vcc_lo, 0, v[7:8]
	v_or_b32_e32 v9, 0x7f, v10
	s_delay_alu instid0(VALU_DEP_1)
	v_cndmask_b32_e32 v25, v9, v25, vcc_lo
; %bb.265:
	s_or_b32 exec_lo, exec_lo, s0
	v_dual_mul_f32 v7, v14, v24 :: v_dual_mov_b32 v8, 0
	s_mov_b32 s0, 0xc3e00000
	s_delay_alu instid0(VALU_DEP_1) | instid1(SALU_CYCLE_1)
	v_maxmin_f32 v9, v7, s0, 0x43e00000
	s_mov_b32 s0, exec_lo
	s_delay_alu instid0(VALU_DEP_2) | instskip(NEXT) | instid1(VALU_DEP_2)
	v_mov_b32_e32 v31, v8
	v_lshrrev_b32_e32 v10, 24, v9
	v_and_b32_e32 v30, 0x7f800000, v9
	v_and_b32_e32 v7, 0x7fffff, v9
	s_delay_alu instid0(VALU_DEP_3) | instskip(NEXT) | instid1(VALU_DEP_1)
	v_and_b32_e32 v29, 0x80, v10
	v_or_b32_e32 v24, 0x7e, v29
	s_delay_alu instid0(VALU_DEP_4)
	v_cmpx_ne_u64_e32 0x7f800000, v[30:31]
	s_xor_b32 s2, exec_lo, s0
	s_cbranch_execz .LBB9_281
; %bb.266:
	v_dual_mov_b32 v31, v8 :: v_dual_and_b32 v30, 0x7fffffff, v9
	s_mov_b32 s0, exec_lo
	s_delay_alu instid0(VALU_DEP_1)
	v_cmpx_gt_u64_e32 0x43e00001, v[30:31]
	s_xor_b32 s3, exec_lo, s0
	s_cbranch_execz .LBB9_280
; %bb.267:
	v_mov_b32_e32 v24, 0
	s_mov_b32 s4, exec_lo
	v_cmpx_ne_u32_e32 0, v9
	s_cbranch_execz .LBB9_279
; %bb.268:
	v_bfe_u32 v24, v9, 23, 8
	v_or_b32_e32 v31, 0x800000, v7
	s_delay_alu instid0(VALU_DEP_2) | instskip(SKIP_1) | instid1(VALU_DEP_2)
	v_sub_nc_u32_e32 v9, 0x79, v24
	v_cmp_gt_u32_e32 vcc_lo, 0x7a, v24
	v_cndmask_b32_e32 v9, 0, v9, vcc_lo
	v_cmp_eq_u32_e32 vcc_lo, 0, v24
	s_delay_alu instid0(VALU_DEP_2) | instskip(SKIP_1) | instid1(VALU_DEP_2)
	v_cndmask_b32_e64 v30, v9, 0x78, vcc_lo
	v_cndmask_b32_e32 v7, v31, v7, vcc_lo
	v_add_nc_u32_e32 v9, 20, v30
	v_add_nc_u32_e32 v31, 19, v30
	s_delay_alu instid0(VALU_DEP_2) | instskip(NEXT) | instid1(VALU_DEP_1)
	v_lshlrev_b64 v[9:10], v9, -1
	v_not_b32_e32 v33, v9
	s_delay_alu instid0(VALU_DEP_2) | instskip(NEXT) | instid1(VALU_DEP_4)
	v_not_b32_e32 v32, v10
	v_lshlrev_b64 v[9:10], v31, 1
	s_delay_alu instid0(VALU_DEP_3) | instskip(SKIP_1) | instid1(VALU_DEP_4)
	v_and_b32_e32 v31, v7, v33
	v_lshrrev_b64 v[7:8], v30, v[7:8]
	v_and_b32_e32 v32, 0, v32
	s_delay_alu instid0(VALU_DEP_1) | instskip(NEXT) | instid1(VALU_DEP_3)
	v_cmp_eq_u64_e64 s0, v[31:32], v[9:10]
	v_dual_mov_b32 v10, v8 :: v_dual_mov_b32 v9, v7
	s_delay_alu instid0(VALU_DEP_2)
	s_and_saveexec_b32 s5, s0
; %bb.269:
	v_bfe_u32 v9, v7, 20, 1
	s_delay_alu instid0(VALU_DEP_1) | instskip(NEXT) | instid1(VALU_DEP_1)
	v_add_co_u32 v9, s0, v7, v9
	v_add_co_u32 v9, s0, v9, -1
; %bb.270:
	s_or_b32 exec_lo, exec_lo, s5
	v_add_nc_u32_e32 v10, 0xffffff81, v24
	v_lshrrev_b32_e32 v24, 23, v7
	s_delay_alu instid0(VALU_DEP_3) | instskip(SKIP_1) | instid1(VALU_DEP_3)
	v_and_b32_e32 v9, 0xfffff, v9
	s_mov_b32 s0, exec_lo
	v_cndmask_b32_e64 v10, v10, 0xffffff82, vcc_lo
	s_delay_alu instid0(VALU_DEP_2) | instskip(SKIP_1) | instid1(VALU_DEP_3)
	v_add_co_u32 v7, vcc_lo, v9, v7
	v_add_co_ci_u32_e32 v8, vcc_lo, 0, v8, vcc_lo
	v_add3_u32 v10, v30, v10, v24
                                        ; implicit-def: $vgpr9
	s_delay_alu instid0(VALU_DEP_1) | instskip(NEXT) | instid1(VALU_DEP_1)
	v_add_nc_u32_e32 v24, 6, v10
	v_cmpx_ne_u32_e32 0, v24
	s_xor_b32 s0, exec_lo, s0
; %bb.271:
	v_cmp_lt_u64_e32 vcc_lo, 0xffffff, v[7:8]
	v_add_nc_u32_e32 v9, 7, v10
	v_cndmask_b32_e64 v10, 0, 1, vcc_lo
	s_delay_alu instid0(VALU_DEP_2) | instskip(NEXT) | instid1(VALU_DEP_2)
	v_cndmask_b32_e32 v9, v24, v9, vcc_lo
	v_lshrrev_b64 v[7:8], v10, v[7:8]
; %bb.272:
	s_and_not1_saveexec_b32 s0, s0
; %bb.273:
	s_delay_alu instid0(VALU_DEP_1)
	v_bfe_u32 v9, v7, 23, 1
; %bb.274:
	s_or_b32 exec_lo, exec_lo, s0
	s_delay_alu instid0(VALU_DEP_2) | instskip(NEXT) | instid1(VALU_DEP_2)
	v_lshrrev_b64 v[7:8], 20, v[7:8]
	v_cmp_gt_i32_e32 vcc_lo, 16, v9
	v_cmp_ne_u32_e64 s0, 0, v9
                                        ; implicit-def: $vgpr24
	s_delay_alu instid0(VALU_DEP_3) | instskip(NEXT) | instid1(VALU_DEP_1)
	v_dual_cndmask_b32 v8, 0, v8 :: v_dual_cndmask_b32 v7, 7, v7
	v_cmp_ne_u64_e32 vcc_lo, 0, v[7:8]
	s_delay_alu instid0(VALU_DEP_3) | instskip(NEXT) | instid1(SALU_CYCLE_1)
	s_or_b32 s0, s0, vcc_lo
	s_and_saveexec_b32 s5, s0
	s_delay_alu instid0(SALU_CYCLE_1)
	s_xor_b32 s0, exec_lo, s5
; %bb.275:
	v_min_i32_e32 v8, 15, v9
	s_delay_alu instid0(VALU_DEP_1) | instskip(NEXT) | instid1(VALU_DEP_1)
	v_lshl_or_b32 v8, v8, 3, v29
                                        ; implicit-def: $vgpr29
	v_and_or_b32 v24, v7, 7, v8
; %bb.276:
	s_and_not1_saveexec_b32 s0, s0
; %bb.277:
	v_mov_b32_e32 v24, v29
; %bb.278:
	s_or_b32 exec_lo, exec_lo, s0
.LBB9_279:
	s_delay_alu instid0(SALU_CYCLE_1)
	s_or_b32 exec_lo, exec_lo, s4
.LBB9_280:
	s_and_not1_saveexec_b32 s0, s3
	s_delay_alu instid0(SALU_CYCLE_1)
	s_or_b32 exec_lo, exec_lo, s0
                                        ; implicit-def: $vgpr10
                                        ; implicit-def: $vgpr7_vgpr8
.LBB9_281:
	s_and_not1_saveexec_b32 s0, s2
; %bb.282:
	v_cmp_eq_u64_e32 vcc_lo, 0, v[7:8]
	v_or_b32_e32 v9, 0x7f, v10
	s_delay_alu instid0(VALU_DEP_1)
	v_cndmask_b32_e32 v24, v9, v24, vcc_lo
; %bb.283:
	s_or_b32 exec_lo, exec_lo, s0
	v_dual_mul_f32 v7, v14, v23 :: v_dual_mov_b32 v8, 0
	s_mov_b32 s0, 0xc3e00000
	s_delay_alu instid0(VALU_DEP_1) | instid1(SALU_CYCLE_1)
	v_maxmin_f32 v9, v7, s0, 0x43e00000
	s_mov_b32 s0, exec_lo
	s_delay_alu instid0(VALU_DEP_2) | instskip(NEXT) | instid1(VALU_DEP_2)
	v_mov_b32_e32 v31, v8
	v_lshrrev_b32_e32 v10, 24, v9
	v_and_b32_e32 v30, 0x7f800000, v9
	v_and_b32_e32 v7, 0x7fffff, v9
	s_delay_alu instid0(VALU_DEP_3) | instskip(NEXT) | instid1(VALU_DEP_1)
	v_and_b32_e32 v29, 0x80, v10
	v_or_b32_e32 v23, 0x7e, v29
	s_delay_alu instid0(VALU_DEP_4)
	v_cmpx_ne_u64_e32 0x7f800000, v[30:31]
	s_xor_b32 s2, exec_lo, s0
	s_cbranch_execz .LBB9_299
; %bb.284:
	v_dual_mov_b32 v31, v8 :: v_dual_and_b32 v30, 0x7fffffff, v9
	s_mov_b32 s0, exec_lo
	s_delay_alu instid0(VALU_DEP_1)
	v_cmpx_gt_u64_e32 0x43e00001, v[30:31]
	s_xor_b32 s3, exec_lo, s0
	s_cbranch_execz .LBB9_298
; %bb.285:
	v_mov_b32_e32 v23, 0
	s_mov_b32 s4, exec_lo
	v_cmpx_ne_u32_e32 0, v9
	s_cbranch_execz .LBB9_297
; %bb.286:
	v_bfe_u32 v23, v9, 23, 8
	v_or_b32_e32 v31, 0x800000, v7
	s_delay_alu instid0(VALU_DEP_2) | instskip(SKIP_1) | instid1(VALU_DEP_2)
	v_sub_nc_u32_e32 v9, 0x79, v23
	v_cmp_gt_u32_e32 vcc_lo, 0x7a, v23
	v_cndmask_b32_e32 v9, 0, v9, vcc_lo
	v_cmp_eq_u32_e32 vcc_lo, 0, v23
	s_delay_alu instid0(VALU_DEP_2) | instskip(SKIP_1) | instid1(VALU_DEP_2)
	v_cndmask_b32_e64 v30, v9, 0x78, vcc_lo
	v_cndmask_b32_e32 v7, v31, v7, vcc_lo
	v_add_nc_u32_e32 v9, 20, v30
	v_add_nc_u32_e32 v31, 19, v30
	s_delay_alu instid0(VALU_DEP_2) | instskip(NEXT) | instid1(VALU_DEP_1)
	v_lshlrev_b64 v[9:10], v9, -1
	v_not_b32_e32 v33, v9
	s_delay_alu instid0(VALU_DEP_2) | instskip(NEXT) | instid1(VALU_DEP_4)
	v_not_b32_e32 v32, v10
	v_lshlrev_b64 v[9:10], v31, 1
	s_delay_alu instid0(VALU_DEP_3) | instskip(SKIP_1) | instid1(VALU_DEP_4)
	v_and_b32_e32 v31, v7, v33
	v_lshrrev_b64 v[7:8], v30, v[7:8]
	v_and_b32_e32 v32, 0, v32
	s_delay_alu instid0(VALU_DEP_1) | instskip(NEXT) | instid1(VALU_DEP_3)
	v_cmp_eq_u64_e64 s0, v[31:32], v[9:10]
	v_dual_mov_b32 v10, v8 :: v_dual_mov_b32 v9, v7
	s_delay_alu instid0(VALU_DEP_2)
	s_and_saveexec_b32 s5, s0
; %bb.287:
	v_bfe_u32 v9, v7, 20, 1
	s_delay_alu instid0(VALU_DEP_1) | instskip(NEXT) | instid1(VALU_DEP_1)
	v_add_co_u32 v9, s0, v7, v9
	v_add_co_u32 v9, s0, v9, -1
; %bb.288:
	s_or_b32 exec_lo, exec_lo, s5
	v_add_nc_u32_e32 v10, 0xffffff81, v23
	v_lshrrev_b32_e32 v23, 23, v7
	s_delay_alu instid0(VALU_DEP_3) | instskip(SKIP_1) | instid1(VALU_DEP_3)
	v_and_b32_e32 v9, 0xfffff, v9
	s_mov_b32 s0, exec_lo
	v_cndmask_b32_e64 v10, v10, 0xffffff82, vcc_lo
	s_delay_alu instid0(VALU_DEP_2) | instskip(SKIP_1) | instid1(VALU_DEP_3)
	v_add_co_u32 v7, vcc_lo, v9, v7
	v_add_co_ci_u32_e32 v8, vcc_lo, 0, v8, vcc_lo
	v_add3_u32 v10, v30, v10, v23
                                        ; implicit-def: $vgpr9
	s_delay_alu instid0(VALU_DEP_1) | instskip(NEXT) | instid1(VALU_DEP_1)
	v_add_nc_u32_e32 v23, 6, v10
	v_cmpx_ne_u32_e32 0, v23
	s_xor_b32 s0, exec_lo, s0
; %bb.289:
	v_cmp_lt_u64_e32 vcc_lo, 0xffffff, v[7:8]
	v_add_nc_u32_e32 v9, 7, v10
	v_cndmask_b32_e64 v10, 0, 1, vcc_lo
	s_delay_alu instid0(VALU_DEP_2) | instskip(NEXT) | instid1(VALU_DEP_2)
	v_cndmask_b32_e32 v9, v23, v9, vcc_lo
	v_lshrrev_b64 v[7:8], v10, v[7:8]
; %bb.290:
	s_and_not1_saveexec_b32 s0, s0
; %bb.291:
	s_delay_alu instid0(VALU_DEP_1)
	v_bfe_u32 v9, v7, 23, 1
; %bb.292:
	s_or_b32 exec_lo, exec_lo, s0
	s_delay_alu instid0(VALU_DEP_2) | instskip(NEXT) | instid1(VALU_DEP_2)
	v_lshrrev_b64 v[7:8], 20, v[7:8]
	v_cmp_gt_i32_e32 vcc_lo, 16, v9
	v_cmp_ne_u32_e64 s0, 0, v9
                                        ; implicit-def: $vgpr23
	s_delay_alu instid0(VALU_DEP_3) | instskip(NEXT) | instid1(VALU_DEP_1)
	v_dual_cndmask_b32 v8, 0, v8 :: v_dual_cndmask_b32 v7, 7, v7
	v_cmp_ne_u64_e32 vcc_lo, 0, v[7:8]
	s_delay_alu instid0(VALU_DEP_3) | instskip(NEXT) | instid1(SALU_CYCLE_1)
	s_or_b32 s0, s0, vcc_lo
	s_and_saveexec_b32 s5, s0
	s_delay_alu instid0(SALU_CYCLE_1)
	s_xor_b32 s0, exec_lo, s5
; %bb.293:
	v_min_i32_e32 v8, 15, v9
	s_delay_alu instid0(VALU_DEP_1) | instskip(NEXT) | instid1(VALU_DEP_1)
	v_lshl_or_b32 v8, v8, 3, v29
                                        ; implicit-def: $vgpr29
	v_and_or_b32 v23, v7, 7, v8
; %bb.294:
	s_and_not1_saveexec_b32 s0, s0
; %bb.295:
	v_mov_b32_e32 v23, v29
; %bb.296:
	s_or_b32 exec_lo, exec_lo, s0
.LBB9_297:
	s_delay_alu instid0(SALU_CYCLE_1)
	s_or_b32 exec_lo, exec_lo, s4
.LBB9_298:
	s_and_not1_saveexec_b32 s0, s3
	s_delay_alu instid0(SALU_CYCLE_1)
	s_or_b32 exec_lo, exec_lo, s0
                                        ; implicit-def: $vgpr10
                                        ; implicit-def: $vgpr7_vgpr8
.LBB9_299:
	s_and_not1_saveexec_b32 s0, s2
; %bb.300:
	v_cmp_eq_u64_e32 vcc_lo, 0, v[7:8]
	v_or_b32_e32 v9, 0x7f, v10
	s_delay_alu instid0(VALU_DEP_1)
	v_cndmask_b32_e32 v23, v9, v23, vcc_lo
; %bb.301:
	s_or_b32 exec_lo, exec_lo, s0
	v_dual_mul_f32 v7, v14, v22 :: v_dual_mov_b32 v8, 0
	s_mov_b32 s0, 0xc3e00000
	s_delay_alu instid0(VALU_DEP_1) | instid1(SALU_CYCLE_1)
	v_maxmin_f32 v9, v7, s0, 0x43e00000
	s_mov_b32 s0, exec_lo
	s_delay_alu instid0(VALU_DEP_2) | instskip(NEXT) | instid1(VALU_DEP_2)
	v_mov_b32_e32 v31, v8
	v_lshrrev_b32_e32 v10, 24, v9
	v_and_b32_e32 v30, 0x7f800000, v9
	v_and_b32_e32 v7, 0x7fffff, v9
	s_delay_alu instid0(VALU_DEP_3) | instskip(NEXT) | instid1(VALU_DEP_1)
	v_and_b32_e32 v29, 0x80, v10
	v_or_b32_e32 v22, 0x7e, v29
	s_delay_alu instid0(VALU_DEP_4)
	v_cmpx_ne_u64_e32 0x7f800000, v[30:31]
	s_xor_b32 s2, exec_lo, s0
	s_cbranch_execz .LBB9_317
; %bb.302:
	v_dual_mov_b32 v31, v8 :: v_dual_and_b32 v30, 0x7fffffff, v9
	s_mov_b32 s0, exec_lo
	s_delay_alu instid0(VALU_DEP_1)
	v_cmpx_gt_u64_e32 0x43e00001, v[30:31]
	s_xor_b32 s3, exec_lo, s0
	s_cbranch_execz .LBB9_316
; %bb.303:
	v_mov_b32_e32 v22, 0
	s_mov_b32 s4, exec_lo
	v_cmpx_ne_u32_e32 0, v9
	s_cbranch_execz .LBB9_315
; %bb.304:
	v_bfe_u32 v22, v9, 23, 8
	v_or_b32_e32 v31, 0x800000, v7
	s_delay_alu instid0(VALU_DEP_2) | instskip(SKIP_1) | instid1(VALU_DEP_2)
	v_sub_nc_u32_e32 v9, 0x79, v22
	v_cmp_gt_u32_e32 vcc_lo, 0x7a, v22
	v_cndmask_b32_e32 v9, 0, v9, vcc_lo
	v_cmp_eq_u32_e32 vcc_lo, 0, v22
	s_delay_alu instid0(VALU_DEP_2) | instskip(SKIP_1) | instid1(VALU_DEP_2)
	v_cndmask_b32_e64 v30, v9, 0x78, vcc_lo
	v_cndmask_b32_e32 v7, v31, v7, vcc_lo
	v_add_nc_u32_e32 v9, 20, v30
	v_add_nc_u32_e32 v31, 19, v30
	s_delay_alu instid0(VALU_DEP_2) | instskip(NEXT) | instid1(VALU_DEP_1)
	v_lshlrev_b64 v[9:10], v9, -1
	v_not_b32_e32 v33, v9
	s_delay_alu instid0(VALU_DEP_2) | instskip(NEXT) | instid1(VALU_DEP_4)
	v_not_b32_e32 v32, v10
	v_lshlrev_b64 v[9:10], v31, 1
	s_delay_alu instid0(VALU_DEP_3) | instskip(SKIP_1) | instid1(VALU_DEP_4)
	v_and_b32_e32 v31, v7, v33
	v_lshrrev_b64 v[7:8], v30, v[7:8]
	v_and_b32_e32 v32, 0, v32
	s_delay_alu instid0(VALU_DEP_1) | instskip(NEXT) | instid1(VALU_DEP_3)
	v_cmp_eq_u64_e64 s0, v[31:32], v[9:10]
	v_dual_mov_b32 v10, v8 :: v_dual_mov_b32 v9, v7
	s_delay_alu instid0(VALU_DEP_2)
	s_and_saveexec_b32 s5, s0
; %bb.305:
	v_bfe_u32 v9, v7, 20, 1
	s_delay_alu instid0(VALU_DEP_1) | instskip(NEXT) | instid1(VALU_DEP_1)
	v_add_co_u32 v9, s0, v7, v9
	v_add_co_u32 v9, s0, v9, -1
; %bb.306:
	s_or_b32 exec_lo, exec_lo, s5
	v_add_nc_u32_e32 v10, 0xffffff81, v22
	v_lshrrev_b32_e32 v22, 23, v7
	s_delay_alu instid0(VALU_DEP_3) | instskip(SKIP_1) | instid1(VALU_DEP_3)
	v_and_b32_e32 v9, 0xfffff, v9
	s_mov_b32 s0, exec_lo
	v_cndmask_b32_e64 v10, v10, 0xffffff82, vcc_lo
	s_delay_alu instid0(VALU_DEP_2) | instskip(SKIP_1) | instid1(VALU_DEP_3)
	v_add_co_u32 v7, vcc_lo, v9, v7
	v_add_co_ci_u32_e32 v8, vcc_lo, 0, v8, vcc_lo
	v_add3_u32 v10, v30, v10, v22
                                        ; implicit-def: $vgpr9
	s_delay_alu instid0(VALU_DEP_1) | instskip(NEXT) | instid1(VALU_DEP_1)
	v_add_nc_u32_e32 v22, 6, v10
	v_cmpx_ne_u32_e32 0, v22
	s_xor_b32 s0, exec_lo, s0
; %bb.307:
	v_cmp_lt_u64_e32 vcc_lo, 0xffffff, v[7:8]
	v_add_nc_u32_e32 v9, 7, v10
	v_cndmask_b32_e64 v10, 0, 1, vcc_lo
	s_delay_alu instid0(VALU_DEP_2) | instskip(NEXT) | instid1(VALU_DEP_2)
	v_cndmask_b32_e32 v9, v22, v9, vcc_lo
	v_lshrrev_b64 v[7:8], v10, v[7:8]
; %bb.308:
	s_and_not1_saveexec_b32 s0, s0
; %bb.309:
	s_delay_alu instid0(VALU_DEP_1)
	v_bfe_u32 v9, v7, 23, 1
; %bb.310:
	s_or_b32 exec_lo, exec_lo, s0
	s_delay_alu instid0(VALU_DEP_2) | instskip(NEXT) | instid1(VALU_DEP_2)
	v_lshrrev_b64 v[7:8], 20, v[7:8]
	v_cmp_gt_i32_e32 vcc_lo, 16, v9
	v_cmp_ne_u32_e64 s0, 0, v9
                                        ; implicit-def: $vgpr22
	s_delay_alu instid0(VALU_DEP_3) | instskip(NEXT) | instid1(VALU_DEP_1)
	v_dual_cndmask_b32 v8, 0, v8 :: v_dual_cndmask_b32 v7, 7, v7
	v_cmp_ne_u64_e32 vcc_lo, 0, v[7:8]
	s_delay_alu instid0(VALU_DEP_3) | instskip(NEXT) | instid1(SALU_CYCLE_1)
	s_or_b32 s0, s0, vcc_lo
	s_and_saveexec_b32 s5, s0
	s_delay_alu instid0(SALU_CYCLE_1)
	s_xor_b32 s0, exec_lo, s5
; %bb.311:
	v_min_i32_e32 v8, 15, v9
	s_delay_alu instid0(VALU_DEP_1) | instskip(NEXT) | instid1(VALU_DEP_1)
	v_lshl_or_b32 v8, v8, 3, v29
                                        ; implicit-def: $vgpr29
	v_and_or_b32 v22, v7, 7, v8
; %bb.312:
	s_and_not1_saveexec_b32 s0, s0
; %bb.313:
	v_mov_b32_e32 v22, v29
; %bb.314:
	s_or_b32 exec_lo, exec_lo, s0
.LBB9_315:
	s_delay_alu instid0(SALU_CYCLE_1)
	s_or_b32 exec_lo, exec_lo, s4
.LBB9_316:
	s_and_not1_saveexec_b32 s0, s3
	s_delay_alu instid0(SALU_CYCLE_1)
	s_or_b32 exec_lo, exec_lo, s0
                                        ; implicit-def: $vgpr10
                                        ; implicit-def: $vgpr7_vgpr8
.LBB9_317:
	s_and_not1_saveexec_b32 s0, s2
; %bb.318:
	v_cmp_eq_u64_e32 vcc_lo, 0, v[7:8]
	v_or_b32_e32 v9, 0x7f, v10
	s_delay_alu instid0(VALU_DEP_1)
	v_cndmask_b32_e32 v22, v9, v22, vcc_lo
; %bb.319:
	s_or_b32 exec_lo, exec_lo, s0
	v_dual_mul_f32 v7, v14, v21 :: v_dual_mov_b32 v8, 0
	s_mov_b32 s0, 0xc3e00000
	s_delay_alu instid0(VALU_DEP_1) | instid1(SALU_CYCLE_1)
	v_maxmin_f32 v9, v7, s0, 0x43e00000
	s_mov_b32 s0, exec_lo
	s_delay_alu instid0(VALU_DEP_2) | instskip(NEXT) | instid1(VALU_DEP_2)
	v_mov_b32_e32 v31, v8
	v_lshrrev_b32_e32 v10, 24, v9
	v_and_b32_e32 v30, 0x7f800000, v9
	v_and_b32_e32 v7, 0x7fffff, v9
	s_delay_alu instid0(VALU_DEP_3) | instskip(NEXT) | instid1(VALU_DEP_1)
	v_and_b32_e32 v29, 0x80, v10
	v_or_b32_e32 v21, 0x7e, v29
	s_delay_alu instid0(VALU_DEP_4)
	v_cmpx_ne_u64_e32 0x7f800000, v[30:31]
	s_xor_b32 s2, exec_lo, s0
	s_cbranch_execz .LBB9_335
; %bb.320:
	v_dual_mov_b32 v31, v8 :: v_dual_and_b32 v30, 0x7fffffff, v9
	s_mov_b32 s0, exec_lo
	s_delay_alu instid0(VALU_DEP_1)
	v_cmpx_gt_u64_e32 0x43e00001, v[30:31]
	s_xor_b32 s3, exec_lo, s0
	s_cbranch_execz .LBB9_334
; %bb.321:
	v_mov_b32_e32 v21, 0
	s_mov_b32 s4, exec_lo
	v_cmpx_ne_u32_e32 0, v9
	s_cbranch_execz .LBB9_333
; %bb.322:
	v_bfe_u32 v21, v9, 23, 8
	v_or_b32_e32 v31, 0x800000, v7
	s_delay_alu instid0(VALU_DEP_2) | instskip(SKIP_1) | instid1(VALU_DEP_2)
	v_sub_nc_u32_e32 v9, 0x79, v21
	v_cmp_gt_u32_e32 vcc_lo, 0x7a, v21
	v_cndmask_b32_e32 v9, 0, v9, vcc_lo
	v_cmp_eq_u32_e32 vcc_lo, 0, v21
	s_delay_alu instid0(VALU_DEP_2) | instskip(SKIP_1) | instid1(VALU_DEP_2)
	v_cndmask_b32_e64 v30, v9, 0x78, vcc_lo
	v_cndmask_b32_e32 v7, v31, v7, vcc_lo
	v_add_nc_u32_e32 v9, 20, v30
	v_add_nc_u32_e32 v31, 19, v30
	s_delay_alu instid0(VALU_DEP_2) | instskip(NEXT) | instid1(VALU_DEP_1)
	v_lshlrev_b64 v[9:10], v9, -1
	v_not_b32_e32 v33, v9
	s_delay_alu instid0(VALU_DEP_2) | instskip(NEXT) | instid1(VALU_DEP_4)
	v_not_b32_e32 v32, v10
	v_lshlrev_b64 v[9:10], v31, 1
	s_delay_alu instid0(VALU_DEP_3) | instskip(SKIP_1) | instid1(VALU_DEP_4)
	v_and_b32_e32 v31, v7, v33
	v_lshrrev_b64 v[7:8], v30, v[7:8]
	v_and_b32_e32 v32, 0, v32
	s_delay_alu instid0(VALU_DEP_1) | instskip(NEXT) | instid1(VALU_DEP_3)
	v_cmp_eq_u64_e64 s0, v[31:32], v[9:10]
	v_dual_mov_b32 v10, v8 :: v_dual_mov_b32 v9, v7
	s_delay_alu instid0(VALU_DEP_2)
	s_and_saveexec_b32 s5, s0
; %bb.323:
	v_bfe_u32 v9, v7, 20, 1
	s_delay_alu instid0(VALU_DEP_1) | instskip(NEXT) | instid1(VALU_DEP_1)
	v_add_co_u32 v9, s0, v7, v9
	v_add_co_u32 v9, s0, v9, -1
; %bb.324:
	s_or_b32 exec_lo, exec_lo, s5
	v_add_nc_u32_e32 v10, 0xffffff81, v21
	v_lshrrev_b32_e32 v21, 23, v7
	s_delay_alu instid0(VALU_DEP_3) | instskip(SKIP_1) | instid1(VALU_DEP_3)
	v_and_b32_e32 v9, 0xfffff, v9
	s_mov_b32 s0, exec_lo
	v_cndmask_b32_e64 v10, v10, 0xffffff82, vcc_lo
	s_delay_alu instid0(VALU_DEP_2) | instskip(SKIP_1) | instid1(VALU_DEP_3)
	v_add_co_u32 v7, vcc_lo, v9, v7
	v_add_co_ci_u32_e32 v8, vcc_lo, 0, v8, vcc_lo
	v_add3_u32 v10, v30, v10, v21
                                        ; implicit-def: $vgpr9
	s_delay_alu instid0(VALU_DEP_1) | instskip(NEXT) | instid1(VALU_DEP_1)
	v_add_nc_u32_e32 v21, 6, v10
	v_cmpx_ne_u32_e32 0, v21
	s_xor_b32 s0, exec_lo, s0
; %bb.325:
	v_cmp_lt_u64_e32 vcc_lo, 0xffffff, v[7:8]
	v_add_nc_u32_e32 v9, 7, v10
	v_cndmask_b32_e64 v10, 0, 1, vcc_lo
	s_delay_alu instid0(VALU_DEP_2) | instskip(NEXT) | instid1(VALU_DEP_2)
	v_cndmask_b32_e32 v9, v21, v9, vcc_lo
	v_lshrrev_b64 v[7:8], v10, v[7:8]
; %bb.326:
	s_and_not1_saveexec_b32 s0, s0
; %bb.327:
	s_delay_alu instid0(VALU_DEP_1)
	v_bfe_u32 v9, v7, 23, 1
; %bb.328:
	s_or_b32 exec_lo, exec_lo, s0
	s_delay_alu instid0(VALU_DEP_2) | instskip(NEXT) | instid1(VALU_DEP_2)
	v_lshrrev_b64 v[7:8], 20, v[7:8]
	v_cmp_gt_i32_e32 vcc_lo, 16, v9
	v_cmp_ne_u32_e64 s0, 0, v9
                                        ; implicit-def: $vgpr21
	s_delay_alu instid0(VALU_DEP_3) | instskip(NEXT) | instid1(VALU_DEP_1)
	v_dual_cndmask_b32 v8, 0, v8 :: v_dual_cndmask_b32 v7, 7, v7
	v_cmp_ne_u64_e32 vcc_lo, 0, v[7:8]
	s_delay_alu instid0(VALU_DEP_3) | instskip(NEXT) | instid1(SALU_CYCLE_1)
	s_or_b32 s0, s0, vcc_lo
	s_and_saveexec_b32 s5, s0
	s_delay_alu instid0(SALU_CYCLE_1)
	s_xor_b32 s0, exec_lo, s5
; %bb.329:
	v_min_i32_e32 v8, 15, v9
	s_delay_alu instid0(VALU_DEP_1) | instskip(NEXT) | instid1(VALU_DEP_1)
	v_lshl_or_b32 v8, v8, 3, v29
                                        ; implicit-def: $vgpr29
	v_and_or_b32 v21, v7, 7, v8
; %bb.330:
	s_and_not1_saveexec_b32 s0, s0
; %bb.331:
	v_mov_b32_e32 v21, v29
; %bb.332:
	s_or_b32 exec_lo, exec_lo, s0
.LBB9_333:
	s_delay_alu instid0(SALU_CYCLE_1)
	s_or_b32 exec_lo, exec_lo, s4
.LBB9_334:
	s_and_not1_saveexec_b32 s0, s3
	s_delay_alu instid0(SALU_CYCLE_1)
	s_or_b32 exec_lo, exec_lo, s0
                                        ; implicit-def: $vgpr10
                                        ; implicit-def: $vgpr7_vgpr8
.LBB9_335:
	s_and_not1_saveexec_b32 s0, s2
; %bb.336:
	v_cmp_eq_u64_e32 vcc_lo, 0, v[7:8]
	v_or_b32_e32 v9, 0x7f, v10
	s_delay_alu instid0(VALU_DEP_1)
	v_cndmask_b32_e32 v21, v9, v21, vcc_lo
; %bb.337:
	s_or_b32 exec_lo, exec_lo, s0
	v_dual_mul_f32 v7, v14, v16 :: v_dual_mov_b32 v8, 0
	s_mov_b32 s0, 0xc3e00000
	s_delay_alu instid0(VALU_DEP_1) | instid1(SALU_CYCLE_1)
	v_maxmin_f32 v9, v7, s0, 0x43e00000
	s_mov_b32 s0, exec_lo
	s_delay_alu instid0(VALU_DEP_2) | instskip(NEXT) | instid1(VALU_DEP_2)
	v_mov_b32_e32 v31, v8
	v_lshrrev_b32_e32 v10, 24, v9
	v_and_b32_e32 v30, 0x7f800000, v9
	v_and_b32_e32 v7, 0x7fffff, v9
	s_delay_alu instid0(VALU_DEP_3) | instskip(NEXT) | instid1(VALU_DEP_1)
	v_and_b32_e32 v29, 0x80, v10
	v_or_b32_e32 v16, 0x7e, v29
	s_delay_alu instid0(VALU_DEP_4)
	v_cmpx_ne_u64_e32 0x7f800000, v[30:31]
	s_xor_b32 s2, exec_lo, s0
	s_cbranch_execz .LBB9_353
; %bb.338:
	v_dual_mov_b32 v31, v8 :: v_dual_and_b32 v30, 0x7fffffff, v9
	s_mov_b32 s0, exec_lo
	s_delay_alu instid0(VALU_DEP_1)
	v_cmpx_gt_u64_e32 0x43e00001, v[30:31]
	s_xor_b32 s3, exec_lo, s0
	s_cbranch_execz .LBB9_352
; %bb.339:
	v_mov_b32_e32 v16, 0
	s_mov_b32 s4, exec_lo
	v_cmpx_ne_u32_e32 0, v9
	s_cbranch_execz .LBB9_351
; %bb.340:
	v_bfe_u32 v16, v9, 23, 8
	v_or_b32_e32 v31, 0x800000, v7
	s_delay_alu instid0(VALU_DEP_2) | instskip(SKIP_1) | instid1(VALU_DEP_2)
	v_sub_nc_u32_e32 v9, 0x79, v16
	v_cmp_gt_u32_e32 vcc_lo, 0x7a, v16
	v_cndmask_b32_e32 v9, 0, v9, vcc_lo
	v_cmp_eq_u32_e32 vcc_lo, 0, v16
	s_delay_alu instid0(VALU_DEP_2) | instskip(SKIP_1) | instid1(VALU_DEP_2)
	v_cndmask_b32_e64 v30, v9, 0x78, vcc_lo
	v_cndmask_b32_e32 v7, v31, v7, vcc_lo
	v_add_nc_u32_e32 v9, 20, v30
	v_add_nc_u32_e32 v31, 19, v30
	s_delay_alu instid0(VALU_DEP_2) | instskip(NEXT) | instid1(VALU_DEP_1)
	v_lshlrev_b64 v[9:10], v9, -1
	v_not_b32_e32 v33, v9
	s_delay_alu instid0(VALU_DEP_2) | instskip(NEXT) | instid1(VALU_DEP_4)
	v_not_b32_e32 v32, v10
	v_lshlrev_b64 v[9:10], v31, 1
	s_delay_alu instid0(VALU_DEP_3) | instskip(SKIP_1) | instid1(VALU_DEP_4)
	v_and_b32_e32 v31, v7, v33
	v_lshrrev_b64 v[7:8], v30, v[7:8]
	v_and_b32_e32 v32, 0, v32
	s_delay_alu instid0(VALU_DEP_1) | instskip(NEXT) | instid1(VALU_DEP_3)
	v_cmp_eq_u64_e64 s0, v[31:32], v[9:10]
	v_dual_mov_b32 v10, v8 :: v_dual_mov_b32 v9, v7
	s_delay_alu instid0(VALU_DEP_2)
	s_and_saveexec_b32 s5, s0
; %bb.341:
	v_bfe_u32 v9, v7, 20, 1
	s_delay_alu instid0(VALU_DEP_1) | instskip(NEXT) | instid1(VALU_DEP_1)
	v_add_co_u32 v9, s0, v7, v9
	v_add_co_u32 v9, s0, v9, -1
; %bb.342:
	s_or_b32 exec_lo, exec_lo, s5
	v_add_nc_u32_e32 v10, 0xffffff81, v16
	v_lshrrev_b32_e32 v16, 23, v7
	s_delay_alu instid0(VALU_DEP_3) | instskip(SKIP_1) | instid1(VALU_DEP_3)
	v_and_b32_e32 v9, 0xfffff, v9
	s_mov_b32 s0, exec_lo
	v_cndmask_b32_e64 v10, v10, 0xffffff82, vcc_lo
	s_delay_alu instid0(VALU_DEP_2) | instskip(SKIP_1) | instid1(VALU_DEP_3)
	v_add_co_u32 v7, vcc_lo, v9, v7
	v_add_co_ci_u32_e32 v8, vcc_lo, 0, v8, vcc_lo
	v_add3_u32 v10, v30, v10, v16
                                        ; implicit-def: $vgpr9
	s_delay_alu instid0(VALU_DEP_1) | instskip(NEXT) | instid1(VALU_DEP_1)
	v_add_nc_u32_e32 v16, 6, v10
	v_cmpx_ne_u32_e32 0, v16
	s_xor_b32 s0, exec_lo, s0
; %bb.343:
	v_cmp_lt_u64_e32 vcc_lo, 0xffffff, v[7:8]
	v_add_nc_u32_e32 v9, 7, v10
	v_cndmask_b32_e64 v10, 0, 1, vcc_lo
	s_delay_alu instid0(VALU_DEP_2) | instskip(NEXT) | instid1(VALU_DEP_2)
	v_cndmask_b32_e32 v9, v16, v9, vcc_lo
	v_lshrrev_b64 v[7:8], v10, v[7:8]
; %bb.344:
	s_and_not1_saveexec_b32 s0, s0
; %bb.345:
	s_delay_alu instid0(VALU_DEP_1)
	v_bfe_u32 v9, v7, 23, 1
; %bb.346:
	s_or_b32 exec_lo, exec_lo, s0
	s_delay_alu instid0(VALU_DEP_2) | instskip(NEXT) | instid1(VALU_DEP_2)
	v_lshrrev_b64 v[7:8], 20, v[7:8]
	v_cmp_gt_i32_e32 vcc_lo, 16, v9
	v_cmp_ne_u32_e64 s0, 0, v9
                                        ; implicit-def: $vgpr16
	s_delay_alu instid0(VALU_DEP_3) | instskip(NEXT) | instid1(VALU_DEP_1)
	v_dual_cndmask_b32 v8, 0, v8 :: v_dual_cndmask_b32 v7, 7, v7
	v_cmp_ne_u64_e32 vcc_lo, 0, v[7:8]
	s_delay_alu instid0(VALU_DEP_3) | instskip(NEXT) | instid1(SALU_CYCLE_1)
	s_or_b32 s0, s0, vcc_lo
	s_and_saveexec_b32 s5, s0
	s_delay_alu instid0(SALU_CYCLE_1)
	s_xor_b32 s0, exec_lo, s5
; %bb.347:
	v_min_i32_e32 v8, 15, v9
	s_delay_alu instid0(VALU_DEP_1) | instskip(NEXT) | instid1(VALU_DEP_1)
	v_lshl_or_b32 v8, v8, 3, v29
                                        ; implicit-def: $vgpr29
	v_and_or_b32 v16, v7, 7, v8
; %bb.348:
	s_and_not1_saveexec_b32 s0, s0
; %bb.349:
	v_mov_b32_e32 v16, v29
; %bb.350:
	s_or_b32 exec_lo, exec_lo, s0
.LBB9_351:
	s_delay_alu instid0(SALU_CYCLE_1)
	s_or_b32 exec_lo, exec_lo, s4
.LBB9_352:
	s_and_not1_saveexec_b32 s0, s3
	s_delay_alu instid0(SALU_CYCLE_1)
	s_or_b32 exec_lo, exec_lo, s0
                                        ; implicit-def: $vgpr10
                                        ; implicit-def: $vgpr7_vgpr8
.LBB9_353:
	s_and_not1_saveexec_b32 s0, s2
; %bb.354:
	v_cmp_eq_u64_e32 vcc_lo, 0, v[7:8]
	v_or_b32_e32 v9, 0x7f, v10
	s_delay_alu instid0(VALU_DEP_1)
	v_cndmask_b32_e32 v16, v9, v16, vcc_lo
; %bb.355:
	s_or_b32 exec_lo, exec_lo, s0
	v_dual_mul_f32 v7, v14, v13 :: v_dual_mov_b32 v8, 0
	s_mov_b32 s0, 0xc3e00000
	s_delay_alu instid0(VALU_DEP_1) | instid1(SALU_CYCLE_1)
	v_maxmin_f32 v10, v7, s0, 0x43e00000
	s_mov_b32 s0, exec_lo
	s_delay_alu instid0(VALU_DEP_2) | instskip(NEXT) | instid1(VALU_DEP_2)
	v_mov_b32_e32 v30, v8
	v_lshrrev_b32_e32 v14, 24, v10
	v_and_b32_e32 v29, 0x7f800000, v10
	v_and_b32_e32 v7, 0x7fffff, v10
	s_delay_alu instid0(VALU_DEP_3) | instskip(NEXT) | instid1(VALU_DEP_1)
	v_and_b32_e32 v13, 0x80, v14
	v_or_b32_e32 v9, 0x7e, v13
	s_delay_alu instid0(VALU_DEP_4)
	v_cmpx_ne_u64_e32 0x7f800000, v[29:30]
	s_xor_b32 s2, exec_lo, s0
	s_cbranch_execz .LBB9_371
; %bb.356:
	v_dual_mov_b32 v30, v8 :: v_dual_and_b32 v29, 0x7fffffff, v10
	s_mov_b32 s0, exec_lo
	s_delay_alu instid0(VALU_DEP_1)
	v_cmpx_gt_u64_e32 0x43e00001, v[29:30]
	s_xor_b32 s3, exec_lo, s0
	s_cbranch_execz .LBB9_370
; %bb.357:
	v_mov_b32_e32 v9, 0
	s_mov_b32 s4, exec_lo
	v_cmpx_ne_u32_e32 0, v10
	s_cbranch_execz .LBB9_369
; %bb.358:
	v_bfe_u32 v14, v10, 23, 8
	v_or_b32_e32 v30, 0x800000, v7
	s_delay_alu instid0(VALU_DEP_2) | instskip(SKIP_1) | instid1(VALU_DEP_2)
	v_sub_nc_u32_e32 v9, 0x79, v14
	v_cmp_gt_u32_e32 vcc_lo, 0x7a, v14
	v_cndmask_b32_e32 v9, 0, v9, vcc_lo
	v_cmp_eq_u32_e32 vcc_lo, 0, v14
	s_delay_alu instid0(VALU_DEP_2) | instskip(NEXT) | instid1(VALU_DEP_1)
	v_cndmask_b32_e64 v29, v9, 0x78, vcc_lo
	v_dual_cndmask_b32 v7, v30, v7 :: v_dual_add_nc_u32 v30, 19, v29
	v_add_nc_u32_e32 v9, 20, v29
	s_delay_alu instid0(VALU_DEP_1) | instskip(NEXT) | instid1(VALU_DEP_1)
	v_lshlrev_b64 v[9:10], v9, -1
	v_not_b32_e32 v32, v9
	s_delay_alu instid0(VALU_DEP_2) | instskip(SKIP_1) | instid1(VALU_DEP_3)
	v_not_b32_e32 v31, v10
	v_lshlrev_b64 v[9:10], v30, 1
	v_and_b32_e32 v30, v7, v32
	v_lshrrev_b64 v[7:8], v29, v[7:8]
	s_delay_alu instid0(VALU_DEP_4) | instskip(NEXT) | instid1(VALU_DEP_1)
	v_and_b32_e32 v31, 0, v31
	v_cmp_eq_u64_e64 s0, v[30:31], v[9:10]
	s_delay_alu instid0(VALU_DEP_3) | instskip(NEXT) | instid1(VALU_DEP_2)
	v_dual_mov_b32 v10, v8 :: v_dual_mov_b32 v9, v7
	s_and_saveexec_b32 s5, s0
; %bb.359:
	v_bfe_u32 v9, v7, 20, 1
	s_delay_alu instid0(VALU_DEP_1) | instskip(NEXT) | instid1(VALU_DEP_1)
	v_add_co_u32 v9, s0, v7, v9
	v_add_co_u32 v9, s0, v9, -1
; %bb.360:
	s_or_b32 exec_lo, exec_lo, s5
	v_add_nc_u32_e32 v10, 0xffffff81, v14
	v_lshrrev_b32_e32 v14, 23, v7
	s_mov_b32 s0, exec_lo
	s_delay_alu instid0(VALU_DEP_2) | instskip(NEXT) | instid1(VALU_DEP_1)
	v_cndmask_b32_e64 v10, v10, 0xffffff82, vcc_lo
	v_add3_u32 v14, v29, v10, v14
	v_and_b32_e32 v10, 0xfffff, v9
	s_delay_alu instid0(VALU_DEP_2) | instskip(NEXT) | instid1(VALU_DEP_2)
	v_add_nc_u32_e32 v9, 6, v14
	v_add_co_u32 v7, vcc_lo, v10, v7
	v_add_co_ci_u32_e32 v8, vcc_lo, 0, v8, vcc_lo
                                        ; implicit-def: $vgpr10
	s_delay_alu instid0(VALU_DEP_3)
	v_cmpx_ne_u32_e32 0, v9
	s_xor_b32 s0, exec_lo, s0
; %bb.361:
	s_delay_alu instid0(VALU_DEP_2) | instskip(SKIP_1) | instid1(VALU_DEP_1)
	v_cmp_lt_u64_e32 vcc_lo, 0xffffff, v[7:8]
	v_add_nc_u32_e32 v10, 7, v14
	v_cndmask_b32_e32 v10, v9, v10, vcc_lo
	v_cndmask_b32_e64 v9, 0, 1, vcc_lo
	s_delay_alu instid0(VALU_DEP_1)
	v_lshrrev_b64 v[7:8], v9, v[7:8]
; %bb.362:
	s_and_not1_saveexec_b32 s0, s0
; %bb.363:
	s_delay_alu instid0(VALU_DEP_1)
	v_bfe_u32 v10, v7, 23, 1
; %bb.364:
	s_or_b32 exec_lo, exec_lo, s0
	s_delay_alu instid0(VALU_DEP_2) | instskip(NEXT) | instid1(VALU_DEP_2)
	v_lshrrev_b64 v[7:8], 20, v[7:8]
	v_cmp_gt_i32_e32 vcc_lo, 16, v10
	v_cmp_ne_u32_e64 s0, 0, v10
                                        ; implicit-def: $vgpr9
	s_delay_alu instid0(VALU_DEP_3) | instskip(NEXT) | instid1(VALU_DEP_1)
	v_dual_cndmask_b32 v8, 0, v8 :: v_dual_cndmask_b32 v7, 7, v7
	v_cmp_ne_u64_e32 vcc_lo, 0, v[7:8]
	s_delay_alu instid0(VALU_DEP_3) | instskip(NEXT) | instid1(SALU_CYCLE_1)
	s_or_b32 s0, s0, vcc_lo
	s_and_saveexec_b32 s5, s0
	s_delay_alu instid0(SALU_CYCLE_1)
	s_xor_b32 s0, exec_lo, s5
; %bb.365:
	v_min_i32_e32 v8, 15, v10
	s_delay_alu instid0(VALU_DEP_1) | instskip(NEXT) | instid1(VALU_DEP_1)
	v_lshl_or_b32 v8, v8, 3, v13
                                        ; implicit-def: $vgpr13
	v_and_or_b32 v9, v7, 7, v8
; %bb.366:
	s_and_not1_saveexec_b32 s0, s0
; %bb.367:
	v_mov_b32_e32 v9, v13
; %bb.368:
	s_or_b32 exec_lo, exec_lo, s0
.LBB9_369:
	s_delay_alu instid0(SALU_CYCLE_1)
	s_or_b32 exec_lo, exec_lo, s4
.LBB9_370:
	s_and_not1_saveexec_b32 s0, s3
	s_delay_alu instid0(SALU_CYCLE_1)
	s_or_b32 exec_lo, exec_lo, s0
                                        ; implicit-def: $vgpr14
                                        ; implicit-def: $vgpr7_vgpr8
.LBB9_371:
	s_and_not1_saveexec_b32 s0, s2
; %bb.372:
	v_cmp_eq_u64_e32 vcc_lo, 0, v[7:8]
	v_or_b32_e32 v10, 0x7f, v14
	s_delay_alu instid0(VALU_DEP_1)
	v_cndmask_b32_e32 v9, v10, v9, vcc_lo
; %bb.373:
	s_or_b32 exec_lo, exec_lo, s0
	v_mad_i64_i32 v[7:8], null, 0x240, s8, v[3:4]
	v_lshlrev_b64 v[5:6], 3, v[5:6]
	v_lshlrev_b16 v10, 8, v21
	v_and_b32_e32 v13, 0xff, v22
	v_lshlrev_b16 v9, 8, v9
	v_and_b32_e32 v14, 0xff, v16
	;; [unrolled: 2-line block ×3, first 2 shown]
	v_add_co_u32 v3, vcc_lo, v7, v5
	v_add_co_ci_u32_e32 v4, vcc_lo, v8, v6, vcc_lo
	v_or_b32_e32 v5, v13, v10
	v_or_b32_e32 v6, v14, v9
	;; [unrolled: 1-line block ×3, first 2 shown]
	v_lshlrev_b16 v8, 8, v23
	v_and_b32_e32 v9, 0xff, v24
	v_lshlrev_b16 v10, 8, v20
	v_and_b32_e32 v13, 0xff, v19
	;; [unrolled: 2-line block ×5, first 2 shown]
	v_or_b32_e32 v8, v9, v8
	v_or_b32_e32 v9, v13, v10
	;; [unrolled: 1-line block ×5, first 2 shown]
	v_and_b32_e32 v5, 0xffff, v5
	v_lshlrev_b32_e32 v6, 16, v6
	v_and_b32_e32 v7, 0xffff, v7
	v_lshlrev_b32_e32 v14, 16, v8
	;; [unrolled: 2-line block ×4, first 2 shown]
	v_add_co_u32 v1, vcc_lo, v1, v37
	v_add_co_ci_u32_e32 v2, vcc_lo, 0, v2, vcc_lo
	v_and_b32_e32 v0, 3, v0
	v_or_b32_e32 v8, v5, v6
	v_or_b32_e32 v7, v7, v14
	;; [unrolled: 1-line block ×4, first 2 shown]
	s_mov_b32 s0, exec_lo
	global_store_b128 v[1:2], v[5:8], off
	v_cmpx_eq_u32_e32 0, v0
	s_cbranch_execz .LBB9_375
; %bb.374:
	v_add_f32_e32 v0, 0x42fe0000, v11
	v_lshrrev_b32_e32 v1, 2, v38
	s_delay_alu instid0(VALU_DEP_2) | instskip(NEXT) | instid1(VALU_DEP_1)
	v_minmax_f32 v0, v0, 0x437f0000, 0
	v_cvt_i32_f32_e32 v2, v0
	s_delay_alu instid0(VALU_DEP_3)
	v_add_co_u32 v0, vcc_lo, v3, v1
	v_add_co_ci_u32_e32 v1, vcc_lo, 0, v4, vcc_lo
	global_store_b8 v[0:1], v2, off
.LBB9_375:
	s_or_b32 exec_lo, exec_lo, s0
	s_delay_alu instid0(SALU_CYCLE_1)
	s_mov_b32 s0, exec_lo
	v_cmpx_eq_u32_e32 0, v38
	s_cbranch_execz .LBB9_377
; %bb.376:
	v_mov_b32_e32 v0, 0
	global_store_b8 v[3:4], v0, off offset:7
.LBB9_377:
	s_or_b32 exec_lo, exec_lo, s0
                                        ; implicit-def: $vgpr37
                                        ; implicit-def: $vgpr34
                                        ; implicit-def: $vgpr35
                                        ; implicit-def: $vgpr39
                                        ; implicit-def: $vgpr40
                                        ; implicit-def: $vgpr41
                                        ; implicit-def: $vgpr42
                                        ; implicit-def: $vgpr43
                                        ; implicit-def: $vgpr44
                                        ; implicit-def: $vgpr45
                                        ; implicit-def: $vgpr46
                                        ; implicit-def: $vgpr47
                                        ; implicit-def: $vgpr48
                                        ; implicit-def: $vgpr49
                                        ; implicit-def: $vgpr50
                                        ; implicit-def: $vgpr51
                                        ; implicit-def: $vgpr52
                                        ; implicit-def: $vgpr1_vgpr2
.LBB9_378:
	s_and_not1_saveexec_b32 s0, s1
	s_cbranch_execz .LBB9_380
; %bb.379:
	v_lshlrev_b32_e32 v0, 1, v37
	v_perm_b32 v3, v44, v43, 0x7060302
	v_perm_b32 v7, v52, v51, 0x7060302
	;; [unrolled: 1-line block ×4, first 2 shown]
	s_waitcnt lgkmcnt(0)
	v_add_co_u32 v8, vcc_lo, v1, v0
	v_add_co_ci_u32_e32 v9, vcc_lo, 0, v2, vcc_lo
	v_perm_b32 v2, v42, v41, 0x7060302
	v_perm_b32 v1, v40, v39, 0x7060302
	;; [unrolled: 1-line block ×4, first 2 shown]
	s_clause 0x1
	global_store_b128 v[8:9], v[0:3], off offset:-448
	global_store_b128 v[8:9], v[4:7], off offset:-432
.LBB9_380:
	s_or_b32 exec_lo, exec_lo, s7
                                        ; implicit-def: $vgpr33
                                        ; implicit-def: $vgpr35
                                        ; implicit-def: $vgpr37
                                        ; implicit-def: $vgpr1_vgpr2_vgpr3_vgpr4_vgpr5_vgpr6_vgpr7_vgpr8_vgpr9_vgpr10_vgpr11_vgpr12_vgpr13_vgpr14_vgpr15_vgpr16
	s_and_not1_saveexec_b32 s0, s6
	s_cbranch_execz .LBB9_446
.LBB9_381:
	v_and_b32_e32 v0, 0x7f800000, v1
	s_delay_alu instid0(VALU_DEP_1) | instskip(SKIP_1) | instid1(SALU_CYCLE_1)
	v_cmp_ne_u32_e32 vcc_lo, 0x7f800000, v0
                                        ; implicit-def: $vgpr0
	s_and_saveexec_b32 s1, vcc_lo
	s_xor_b32 s1, exec_lo, s1
; %bb.382:
	v_bfe_u32 v0, v1, 16, 1
	s_delay_alu instid0(VALU_DEP_1)
	v_add3_u32 v0, v1, v0, 0x7fff
; %bb.383:
	s_and_not1_saveexec_b32 s1, s1
; %bb.384:
	v_and_b32_e32 v0, 0xffff, v1
	v_or_b32_e32 v17, 0x10000, v1
	s_delay_alu instid0(VALU_DEP_2) | instskip(NEXT) | instid1(VALU_DEP_2)
	v_cmp_eq_u32_e32 vcc_lo, 0, v0
	v_cndmask_b32_e32 v0, v17, v1, vcc_lo
; %bb.385:
	s_or_b32 exec_lo, exec_lo, s1
	v_and_b32_e32 v1, 0x7f800000, v2
	s_mov_b32 s1, exec_lo
                                        ; implicit-def: $vgpr17
	s_delay_alu instid0(VALU_DEP_1)
	v_cmpx_ne_u32_e32 0x7f800000, v1
	s_xor_b32 s1, exec_lo, s1
; %bb.386:
	v_bfe_u32 v1, v2, 16, 1
	s_delay_alu instid0(VALU_DEP_1)
	v_add3_u32 v17, v2, v1, 0x7fff
; %bb.387:
	s_and_not1_saveexec_b32 s1, s1
; %bb.388:
	v_and_b32_e32 v1, 0xffff, v2
	v_or_b32_e32 v17, 0x10000, v2
	s_delay_alu instid0(VALU_DEP_2) | instskip(NEXT) | instid1(VALU_DEP_2)
	v_cmp_eq_u32_e32 vcc_lo, 0, v1
	v_cndmask_b32_e32 v17, v17, v2, vcc_lo
; %bb.389:
	s_or_b32 exec_lo, exec_lo, s1
	v_and_b32_e32 v1, 0x7f800000, v3
	s_mov_b32 s1, exec_lo
                                        ; implicit-def: $vgpr18
	s_delay_alu instid0(VALU_DEP_1)
	v_cmpx_ne_u32_e32 0x7f800000, v1
	s_xor_b32 s1, exec_lo, s1
; %bb.390:
	v_bfe_u32 v1, v3, 16, 1
	s_delay_alu instid0(VALU_DEP_1)
	v_add3_u32 v18, v3, v1, 0x7fff
; %bb.391:
	s_and_not1_saveexec_b32 s1, s1
; %bb.392:
	v_and_b32_e32 v1, 0xffff, v3
	v_or_b32_e32 v2, 0x10000, v3
	s_delay_alu instid0(VALU_DEP_2) | instskip(NEXT) | instid1(VALU_DEP_2)
	v_cmp_eq_u32_e32 vcc_lo, 0, v1
	v_cndmask_b32_e32 v18, v2, v3, vcc_lo
; %bb.393:
	s_or_b32 exec_lo, exec_lo, s1
	v_and_b32_e32 v1, 0x7f800000, v4
	s_mov_b32 s1, exec_lo
                                        ; implicit-def: $vgpr19
	s_delay_alu instid0(VALU_DEP_1)
	v_cmpx_ne_u32_e32 0x7f800000, v1
	s_xor_b32 s1, exec_lo, s1
; %bb.394:
	v_bfe_u32 v1, v4, 16, 1
	s_delay_alu instid0(VALU_DEP_1)
	v_add3_u32 v19, v4, v1, 0x7fff
; %bb.395:
	s_and_not1_saveexec_b32 s1, s1
; %bb.396:
	v_and_b32_e32 v1, 0xffff, v4
	v_or_b32_e32 v2, 0x10000, v4
	s_delay_alu instid0(VALU_DEP_2) | instskip(NEXT) | instid1(VALU_DEP_2)
	v_cmp_eq_u32_e32 vcc_lo, 0, v1
	v_cndmask_b32_e32 v19, v2, v4, vcc_lo
; %bb.397:
	s_or_b32 exec_lo, exec_lo, s1
	v_and_b32_e32 v1, 0x7f800000, v5
	s_mov_b32 s1, exec_lo
                                        ; implicit-def: $vgpr20
	s_delay_alu instid0(VALU_DEP_1)
	v_cmpx_ne_u32_e32 0x7f800000, v1
	s_xor_b32 s1, exec_lo, s1
; %bb.398:
	v_bfe_u32 v1, v5, 16, 1
	s_delay_alu instid0(VALU_DEP_1)
	v_add3_u32 v20, v5, v1, 0x7fff
; %bb.399:
	s_and_not1_saveexec_b32 s1, s1
; %bb.400:
	v_and_b32_e32 v1, 0xffff, v5
	v_or_b32_e32 v2, 0x10000, v5
	s_delay_alu instid0(VALU_DEP_2) | instskip(NEXT) | instid1(VALU_DEP_2)
	v_cmp_eq_u32_e32 vcc_lo, 0, v1
	v_cndmask_b32_e32 v20, v2, v5, vcc_lo
; %bb.401:
	s_or_b32 exec_lo, exec_lo, s1
	v_and_b32_e32 v1, 0x7f800000, v6
	s_mov_b32 s1, exec_lo
                                        ; implicit-def: $vgpr21
	s_delay_alu instid0(VALU_DEP_1)
	v_cmpx_ne_u32_e32 0x7f800000, v1
	s_xor_b32 s1, exec_lo, s1
; %bb.402:
	v_bfe_u32 v1, v6, 16, 1
	s_delay_alu instid0(VALU_DEP_1)
	v_add3_u32 v21, v6, v1, 0x7fff
; %bb.403:
	s_and_not1_saveexec_b32 s1, s1
; %bb.404:
	v_and_b32_e32 v1, 0xffff, v6
	v_or_b32_e32 v2, 0x10000, v6
	s_delay_alu instid0(VALU_DEP_2) | instskip(NEXT) | instid1(VALU_DEP_2)
	v_cmp_eq_u32_e32 vcc_lo, 0, v1
	v_cndmask_b32_e32 v21, v2, v6, vcc_lo
; %bb.405:
	s_or_b32 exec_lo, exec_lo, s1
	v_and_b32_e32 v1, 0x7f800000, v7
	s_mov_b32 s1, exec_lo
                                        ; implicit-def: $vgpr22
	s_delay_alu instid0(VALU_DEP_1)
	v_cmpx_ne_u32_e32 0x7f800000, v1
	s_xor_b32 s1, exec_lo, s1
; %bb.406:
	v_bfe_u32 v1, v7, 16, 1
	s_delay_alu instid0(VALU_DEP_1)
	v_add3_u32 v22, v7, v1, 0x7fff
; %bb.407:
	s_and_not1_saveexec_b32 s1, s1
; %bb.408:
	v_and_b32_e32 v1, 0xffff, v7
	v_or_b32_e32 v2, 0x10000, v7
	s_delay_alu instid0(VALU_DEP_2) | instskip(NEXT) | instid1(VALU_DEP_2)
	v_cmp_eq_u32_e32 vcc_lo, 0, v1
	v_cndmask_b32_e32 v22, v2, v7, vcc_lo
; %bb.409:
	s_or_b32 exec_lo, exec_lo, s1
	s_waitcnt lgkmcnt(0)
	v_and_b32_e32 v1, 0x7f800000, v8
	s_mov_b32 s1, exec_lo
                                        ; implicit-def: $vgpr23
	s_delay_alu instid0(VALU_DEP_1)
	v_cmpx_ne_u32_e32 0x7f800000, v1
	s_xor_b32 s1, exec_lo, s1
; %bb.410:
	v_bfe_u32 v1, v8, 16, 1
	s_delay_alu instid0(VALU_DEP_1)
	v_add3_u32 v23, v8, v1, 0x7fff
; %bb.411:
	s_and_not1_saveexec_b32 s1, s1
; %bb.412:
	v_and_b32_e32 v1, 0xffff, v8
	v_or_b32_e32 v2, 0x10000, v8
	s_delay_alu instid0(VALU_DEP_2) | instskip(NEXT) | instid1(VALU_DEP_2)
	v_cmp_eq_u32_e32 vcc_lo, 0, v1
	v_cndmask_b32_e32 v23, v2, v8, vcc_lo
; %bb.413:
	s_or_b32 exec_lo, exec_lo, s1
	v_and_b32_e32 v1, 0x7f800000, v9
	s_mov_b32 s1, exec_lo
                                        ; implicit-def: $vgpr24
	s_delay_alu instid0(VALU_DEP_1)
	v_cmpx_ne_u32_e32 0x7f800000, v1
	s_xor_b32 s1, exec_lo, s1
; %bb.414:
	v_bfe_u32 v1, v9, 16, 1
	s_delay_alu instid0(VALU_DEP_1)
	v_add3_u32 v24, v9, v1, 0x7fff
; %bb.415:
	s_and_not1_saveexec_b32 s1, s1
; %bb.416:
	v_and_b32_e32 v1, 0xffff, v9
	v_or_b32_e32 v2, 0x10000, v9
	s_delay_alu instid0(VALU_DEP_2) | instskip(NEXT) | instid1(VALU_DEP_2)
	v_cmp_eq_u32_e32 vcc_lo, 0, v1
	v_cndmask_b32_e32 v24, v2, v9, vcc_lo
; %bb.417:
	s_or_b32 exec_lo, exec_lo, s1
	v_and_b32_e32 v1, 0x7f800000, v10
	s_mov_b32 s1, exec_lo
                                        ; implicit-def: $vgpr25
	s_delay_alu instid0(VALU_DEP_1)
	v_cmpx_ne_u32_e32 0x7f800000, v1
	s_xor_b32 s1, exec_lo, s1
; %bb.418:
	v_bfe_u32 v1, v10, 16, 1
	s_delay_alu instid0(VALU_DEP_1)
	v_add3_u32 v25, v10, v1, 0x7fff
; %bb.419:
	s_and_not1_saveexec_b32 s1, s1
; %bb.420:
	v_and_b32_e32 v1, 0xffff, v10
	v_or_b32_e32 v2, 0x10000, v10
	s_delay_alu instid0(VALU_DEP_2) | instskip(NEXT) | instid1(VALU_DEP_2)
	v_cmp_eq_u32_e32 vcc_lo, 0, v1
	v_cndmask_b32_e32 v25, v2, v10, vcc_lo
; %bb.421:
	s_or_b32 exec_lo, exec_lo, s1
	v_and_b32_e32 v1, 0x7f800000, v11
	s_mov_b32 s1, exec_lo
                                        ; implicit-def: $vgpr26
	s_delay_alu instid0(VALU_DEP_1)
	v_cmpx_ne_u32_e32 0x7f800000, v1
	s_xor_b32 s1, exec_lo, s1
; %bb.422:
	v_bfe_u32 v1, v11, 16, 1
	s_delay_alu instid0(VALU_DEP_1)
	v_add3_u32 v26, v11, v1, 0x7fff
; %bb.423:
	s_and_not1_saveexec_b32 s1, s1
; %bb.424:
	v_and_b32_e32 v1, 0xffff, v11
	v_or_b32_e32 v2, 0x10000, v11
	s_delay_alu instid0(VALU_DEP_2) | instskip(NEXT) | instid1(VALU_DEP_2)
	v_cmp_eq_u32_e32 vcc_lo, 0, v1
	v_cndmask_b32_e32 v26, v2, v11, vcc_lo
; %bb.425:
	s_or_b32 exec_lo, exec_lo, s1
	v_and_b32_e32 v1, 0x7f800000, v12
	s_mov_b32 s1, exec_lo
                                        ; implicit-def: $vgpr27
	s_delay_alu instid0(VALU_DEP_1)
	v_cmpx_ne_u32_e32 0x7f800000, v1
	s_xor_b32 s1, exec_lo, s1
; %bb.426:
	v_bfe_u32 v1, v12, 16, 1
	s_delay_alu instid0(VALU_DEP_1)
	v_add3_u32 v27, v12, v1, 0x7fff
; %bb.427:
	s_and_not1_saveexec_b32 s1, s1
; %bb.428:
	v_and_b32_e32 v1, 0xffff, v12
	v_or_b32_e32 v2, 0x10000, v12
	s_delay_alu instid0(VALU_DEP_2) | instskip(NEXT) | instid1(VALU_DEP_2)
	v_cmp_eq_u32_e32 vcc_lo, 0, v1
	v_cndmask_b32_e32 v27, v2, v12, vcc_lo
; %bb.429:
	s_or_b32 exec_lo, exec_lo, s1
	v_and_b32_e32 v1, 0x7f800000, v13
	s_mov_b32 s1, exec_lo
                                        ; implicit-def: $vgpr28
	s_delay_alu instid0(VALU_DEP_1)
	v_cmpx_ne_u32_e32 0x7f800000, v1
	s_xor_b32 s1, exec_lo, s1
; %bb.430:
	v_bfe_u32 v1, v13, 16, 1
	s_delay_alu instid0(VALU_DEP_1)
	v_add3_u32 v28, v13, v1, 0x7fff
; %bb.431:
	s_and_not1_saveexec_b32 s1, s1
; %bb.432:
	v_and_b32_e32 v1, 0xffff, v13
	v_or_b32_e32 v2, 0x10000, v13
	s_delay_alu instid0(VALU_DEP_2) | instskip(NEXT) | instid1(VALU_DEP_2)
	v_cmp_eq_u32_e32 vcc_lo, 0, v1
	v_cndmask_b32_e32 v28, v2, v13, vcc_lo
; %bb.433:
	s_or_b32 exec_lo, exec_lo, s1
	v_and_b32_e32 v1, 0x7f800000, v14
	s_mov_b32 s1, exec_lo
                                        ; implicit-def: $vgpr29
	s_delay_alu instid0(VALU_DEP_1)
	v_cmpx_ne_u32_e32 0x7f800000, v1
	s_xor_b32 s1, exec_lo, s1
; %bb.434:
	v_bfe_u32 v1, v14, 16, 1
	s_delay_alu instid0(VALU_DEP_1)
	v_add3_u32 v29, v14, v1, 0x7fff
; %bb.435:
	s_and_not1_saveexec_b32 s1, s1
; %bb.436:
	v_and_b32_e32 v1, 0xffff, v14
	v_or_b32_e32 v2, 0x10000, v14
	s_delay_alu instid0(VALU_DEP_2) | instskip(NEXT) | instid1(VALU_DEP_2)
	v_cmp_eq_u32_e32 vcc_lo, 0, v1
	v_cndmask_b32_e32 v29, v2, v14, vcc_lo
; %bb.437:
	s_or_b32 exec_lo, exec_lo, s1
	v_and_b32_e32 v1, 0x7f800000, v15
	s_mov_b32 s1, exec_lo
                                        ; implicit-def: $vgpr30
	s_delay_alu instid0(VALU_DEP_1)
	v_cmpx_ne_u32_e32 0x7f800000, v1
	s_xor_b32 s1, exec_lo, s1
; %bb.438:
	v_bfe_u32 v1, v15, 16, 1
	s_delay_alu instid0(VALU_DEP_1)
	v_add3_u32 v30, v15, v1, 0x7fff
; %bb.439:
	s_and_not1_saveexec_b32 s1, s1
; %bb.440:
	v_and_b32_e32 v1, 0xffff, v15
	v_or_b32_e32 v2, 0x10000, v15
	s_delay_alu instid0(VALU_DEP_2) | instskip(NEXT) | instid1(VALU_DEP_2)
	v_cmp_eq_u32_e32 vcc_lo, 0, v1
	v_cndmask_b32_e32 v30, v2, v15, vcc_lo
; %bb.441:
	s_or_b32 exec_lo, exec_lo, s1
	v_and_b32_e32 v1, 0x7f800000, v16
	s_mov_b32 s1, exec_lo
                                        ; implicit-def: $vgpr31
	s_delay_alu instid0(VALU_DEP_1)
	v_cmpx_ne_u32_e32 0x7f800000, v1
	s_xor_b32 s1, exec_lo, s1
; %bb.442:
	v_bfe_u32 v1, v16, 16, 1
	s_delay_alu instid0(VALU_DEP_1)
	v_add3_u32 v31, v16, v1, 0x7fff
                                        ; implicit-def: $vgpr1_vgpr2_vgpr3_vgpr4_vgpr5_vgpr6_vgpr7_vgpr8_vgpr9_vgpr10_vgpr11_vgpr12_vgpr13_vgpr14_vgpr15_vgpr16
; %bb.443:
	s_and_not1_saveexec_b32 s1, s1
; %bb.444:
	v_and_b32_e32 v1, 0xffff, v16
	v_or_b32_e32 v2, 0x10000, v16
	s_delay_alu instid0(VALU_DEP_2) | instskip(NEXT) | instid1(VALU_DEP_2)
	v_cmp_eq_u32_e32 vcc_lo, 0, v1
	v_cndmask_b32_e32 v31, v2, v16, vcc_lo
; %bb.445:
	s_or_b32 exec_lo, exec_lo, s1
	v_ashrrev_i32_e32 v36, 31, v35
	v_lshlrev_b64 v[1:2], 17, v[33:34]
	v_lshlrev_b32_e32 v5, 1, v37
	v_perm_b32 v0, v17, v0, 0x7060302
	v_perm_b32 v7, v31, v30, 0x7060302
	v_lshlrev_b64 v[3:4], 10, v[35:36]
	v_perm_b32 v6, v29, v28, 0x7060302
	v_add_co_u32 v1, vcc_lo, s12, v1
	v_add_co_ci_u32_e32 v2, vcc_lo, s13, v2, vcc_lo
	s_delay_alu instid0(VALU_DEP_2) | instskip(NEXT) | instid1(VALU_DEP_2)
	v_add_co_u32 v1, vcc_lo, v1, v3
	v_add_co_ci_u32_e32 v2, vcc_lo, v2, v4, vcc_lo
	v_perm_b32 v3, v23, v22, 0x7060302
	s_delay_alu instid0(VALU_DEP_3) | instskip(NEXT) | instid1(VALU_DEP_3)
	v_add_co_u32 v8, vcc_lo, v1, v5
	v_add_co_ci_u32_e32 v9, vcc_lo, 0, v2, vcc_lo
	v_perm_b32 v2, v21, v20, 0x7060302
	v_perm_b32 v1, v19, v18, 0x7060302
	;; [unrolled: 1-line block ×4, first 2 shown]
	s_clause 0x1
	global_store_b128 v[8:9], v[0:3], off
	global_store_b128 v[8:9], v[4:7], off offset:16
.LBB9_446:
	s_or_b32 exec_lo, exec_lo, s0
                                        ; implicit-def: $vgpr33
                                        ; implicit-def: $vgpr35
                                        ; implicit-def: $vgpr37
.LBB9_447:
	s_and_not1_saveexec_b32 s0, s9
	s_cbranch_execz .LBB9_449
; %bb.448:
	v_ashrrev_i32_e32 v36, 31, v35
	v_lshlrev_b64 v[0:1], 17, v[33:34]
	s_mov_b32 s0, 0
	s_delay_alu instid0(SALU_CYCLE_1) | instskip(NEXT) | instid1(VALU_DEP_2)
	s_mov_b32 s1, s0
	v_lshlrev_b64 v[2:3], 10, v[35:36]
	s_mov_b32 s2, s0
	s_waitcnt lgkmcnt(0)
	v_add_co_u32 v0, vcc_lo, s12, v0
	v_add_co_ci_u32_e32 v1, vcc_lo, s13, v1, vcc_lo
	s_mov_b32 s3, s0
	v_lshlrev_b32_e32 v4, 1, v37
	s_waitcnt vmcnt(1)
	v_add_co_u32 v5, vcc_lo, v0, v2
	v_add_co_ci_u32_e32 v6, vcc_lo, v1, v3, vcc_lo
	v_dual_mov_b32 v0, s0 :: v_dual_mov_b32 v3, s3
	v_mov_b32_e32 v1, s1
	s_delay_alu instid0(VALU_DEP_4)
	v_add_co_u32 v4, vcc_lo, v5, v4
	v_mov_b32_e32 v2, s2
	v_add_co_ci_u32_e32 v5, vcc_lo, 0, v6, vcc_lo
	s_clause 0x1
	global_store_b128 v[4:5], v[0:3], off
	global_store_b128 v[4:5], v[0:3], off offset:16
.LBB9_449:
	s_nop 0
	s_sendmsg sendmsg(MSG_DEALLOC_VGPRS)
	s_endpgm
	.section	.rodata,"a",@progbits
	.p2align	6, 0x0
	.amdhsa_kernel _ZN4vllm21deepseek_v4_fused_ops47fusedDeepseekV4QNormRopeKVRopeQuantInsertKernelIN3c108BFloat16ELi128EEEvPKT_PS4_S6_PhPKlSA_PKffiiiii
		.amdhsa_group_segment_fixed_size 0
		.amdhsa_private_segment_fixed_size 0
		.amdhsa_kernarg_size 336
		.amdhsa_user_sgpr_count 15
		.amdhsa_user_sgpr_dispatch_ptr 0
		.amdhsa_user_sgpr_queue_ptr 0
		.amdhsa_user_sgpr_kernarg_segment_ptr 1
		.amdhsa_user_sgpr_dispatch_id 0
		.amdhsa_user_sgpr_private_segment_size 0
		.amdhsa_wavefront_size32 1
		.amdhsa_uses_dynamic_stack 0
		.amdhsa_enable_private_segment 0
		.amdhsa_system_sgpr_workgroup_id_x 1
		.amdhsa_system_sgpr_workgroup_id_y 0
		.amdhsa_system_sgpr_workgroup_id_z 0
		.amdhsa_system_sgpr_workgroup_info 0
		.amdhsa_system_vgpr_workitem_id 0
		.amdhsa_next_free_vgpr 53
		.amdhsa_next_free_sgpr 22
		.amdhsa_reserve_vcc 1
		.amdhsa_float_round_mode_32 0
		.amdhsa_float_round_mode_16_64 0
		.amdhsa_float_denorm_mode_32 3
		.amdhsa_float_denorm_mode_16_64 3
		.amdhsa_dx10_clamp 1
		.amdhsa_ieee_mode 1
		.amdhsa_fp16_overflow 0
		.amdhsa_workgroup_processor_mode 1
		.amdhsa_memory_ordered 1
		.amdhsa_forward_progress 0
		.amdhsa_shared_vgpr_count 0
		.amdhsa_exception_fp_ieee_invalid_op 0
		.amdhsa_exception_fp_denorm_src 0
		.amdhsa_exception_fp_ieee_div_zero 0
		.amdhsa_exception_fp_ieee_overflow 0
		.amdhsa_exception_fp_ieee_underflow 0
		.amdhsa_exception_fp_ieee_inexact 0
		.amdhsa_exception_int_div_zero 0
	.end_amdhsa_kernel
	.section	.text._ZN4vllm21deepseek_v4_fused_ops47fusedDeepseekV4QNormRopeKVRopeQuantInsertKernelIN3c108BFloat16ELi128EEEvPKT_PS4_S6_PhPKlSA_PKffiiiii,"axG",@progbits,_ZN4vllm21deepseek_v4_fused_ops47fusedDeepseekV4QNormRopeKVRopeQuantInsertKernelIN3c108BFloat16ELi128EEEvPKT_PS4_S6_PhPKlSA_PKffiiiii,comdat
.Lfunc_end9:
	.size	_ZN4vllm21deepseek_v4_fused_ops47fusedDeepseekV4QNormRopeKVRopeQuantInsertKernelIN3c108BFloat16ELi128EEEvPKT_PS4_S6_PhPKlSA_PKffiiiii, .Lfunc_end9-_ZN4vllm21deepseek_v4_fused_ops47fusedDeepseekV4QNormRopeKVRopeQuantInsertKernelIN3c108BFloat16ELi128EEEvPKT_PS4_S6_PhPKlSA_PKffiiiii
                                        ; -- End function
	.section	.AMDGPU.csdata,"",@progbits
; Kernel info:
; codeLenInByte = 16808
; NumSgprs: 24
; NumVgprs: 53
; ScratchSize: 0
; MemoryBound: 1
; FloatMode: 240
; IeeeMode: 1
; LDSByteSize: 0 bytes/workgroup (compile time only)
; SGPRBlocks: 2
; VGPRBlocks: 6
; NumSGPRsForWavesPerEU: 24
; NumVGPRsForWavesPerEU: 53
; Occupancy: 16
; WaveLimiterHint : 1
; COMPUTE_PGM_RSRC2:SCRATCH_EN: 0
; COMPUTE_PGM_RSRC2:USER_SGPR: 15
; COMPUTE_PGM_RSRC2:TRAP_HANDLER: 0
; COMPUTE_PGM_RSRC2:TGID_X_EN: 1
; COMPUTE_PGM_RSRC2:TGID_Y_EN: 0
; COMPUTE_PGM_RSRC2:TGID_Z_EN: 0
; COMPUTE_PGM_RSRC2:TIDIG_COMP_CNT: 0
	.section	.text._ZN4vllm21deepseek_v4_fused_ops30fusedDeepseekV4FullCacheKernelIN3c104HalfELb0ELb0EEEvPT_PhllPKS4_S6_PKlSA_PKfSC_SC_fiiiill,"axG",@progbits,_ZN4vllm21deepseek_v4_fused_ops30fusedDeepseekV4FullCacheKernelIN3c104HalfELb0ELb0EEEvPT_PhllPKS4_S6_PKlSA_PKfSC_SC_fiiiill,comdat
	.protected	_ZN4vllm21deepseek_v4_fused_ops30fusedDeepseekV4FullCacheKernelIN3c104HalfELb0ELb0EEEvPT_PhllPKS4_S6_PKlSA_PKfSC_SC_fiiiill ; -- Begin function _ZN4vllm21deepseek_v4_fused_ops30fusedDeepseekV4FullCacheKernelIN3c104HalfELb0ELb0EEEvPT_PhllPKS4_S6_PKlSA_PKfSC_SC_fiiiill
	.globl	_ZN4vllm21deepseek_v4_fused_ops30fusedDeepseekV4FullCacheKernelIN3c104HalfELb0ELb0EEEvPT_PhllPKS4_S6_PKlSA_PKfSC_SC_fiiiill
	.p2align	8
	.type	_ZN4vllm21deepseek_v4_fused_ops30fusedDeepseekV4FullCacheKernelIN3c104HalfELb0ELb0EEEvPT_PhllPKS4_S6_PKlSA_PKfSC_SC_fiiiill,@function
_ZN4vllm21deepseek_v4_fused_ops30fusedDeepseekV4FullCacheKernelIN3c104HalfELb0ELb0EEEvPT_PhllPKS4_S6_PKlSA_PKfSC_SC_fiiiill: ; @_ZN4vllm21deepseek_v4_fused_ops30fusedDeepseekV4FullCacheKernelIN3c104HalfELb0ELb0EEEvPT_PhllPKS4_S6_PKlSA_PKfSC_SC_fiiiill
; %bb.0:
	s_clause 0x1
	s_load_b128 s[4:7], s[0:1], 0x58
	s_load_b32 s3, s[0:1], 0x8c
	v_lshrrev_b32_e32 v3, 5, v0
	s_waitcnt lgkmcnt(0)
	s_add_i32 s2, s7, 1
	s_bfe_u32 s3, s3, 0xb0005
	s_abs_i32 s8, s2
	s_delay_alu instid0(SALU_CYCLE_1) | instskip(SKIP_1) | instid1(VALU_DEP_1)
	v_cvt_f32_u32_e32 v1, s8
	s_sub_i32 s9, 0, s8
	v_rcp_iflag_f32_e32 v1, v1
	s_waitcnt_depctr 0xfff
	v_mul_f32_e32 v1, 0x4f7ffffe, v1
	s_delay_alu instid0(VALU_DEP_1) | instskip(NEXT) | instid1(VALU_DEP_1)
	v_cvt_u32_f32_e32 v4, v1
	v_mul_lo_u32 v5, s9, v4
	v_mad_u64_u32 v[1:2], null, s15, s3, v[3:4]
	s_mov_b32 s3, exec_lo
	s_delay_alu instid0(VALU_DEP_2) | instskip(NEXT) | instid1(VALU_DEP_2)
	v_mul_hi_u32 v2, v4, v5
	v_sub_nc_u32_e32 v3, 0, v1
	s_delay_alu instid0(VALU_DEP_1) | instskip(NEXT) | instid1(VALU_DEP_3)
	v_max_i32_e32 v3, v1, v3
	v_add_nc_u32_e32 v2, v4, v2
	s_delay_alu instid0(VALU_DEP_1) | instskip(NEXT) | instid1(VALU_DEP_1)
	v_mul_hi_u32 v2, v3, v2
	v_mul_lo_u32 v4, v2, s8
	s_delay_alu instid0(VALU_DEP_1) | instskip(NEXT) | instid1(VALU_DEP_1)
	v_sub_nc_u32_e32 v3, v3, v4
	v_subrev_nc_u32_e32 v5, s8, v3
	v_cmp_le_u32_e32 vcc_lo, s8, v3
	s_delay_alu instid0(VALU_DEP_2) | instskip(NEXT) | instid1(VALU_DEP_1)
	v_dual_cndmask_b32 v3, v3, v5 :: v_dual_add_nc_u32 v4, 1, v2
	v_cndmask_b32_e32 v2, v2, v4, vcc_lo
	v_xor_b32_e32 v4, s2, v1
	s_delay_alu instid0(VALU_DEP_3) | instskip(NEXT) | instid1(VALU_DEP_3)
	v_cmp_le_u32_e32 vcc_lo, s8, v3
	v_add_nc_u32_e32 v5, 1, v2
	s_delay_alu instid0(VALU_DEP_3) | instskip(NEXT) | instid1(VALU_DEP_2)
	v_ashrrev_i32_e32 v4, 31, v4
	v_cndmask_b32_e32 v2, v2, v5, vcc_lo
	s_delay_alu instid0(VALU_DEP_1) | instskip(NEXT) | instid1(VALU_DEP_1)
	v_xor_b32_e32 v2, v2, v4
	v_sub_nc_u32_e32 v31, v2, v4
	s_delay_alu instid0(VALU_DEP_1)
	v_cmpx_gt_i32_e64 s5, v31
	s_cbranch_execz .LBB10_12
; %bb.1:
	v_mul_lo_u32 v2, v31, s2
	s_load_b32 s12, s[0:1], 0x68
	v_cmp_gt_i32_e64 s3, s6, v31
	s_delay_alu instid0(VALU_DEP_2) | instskip(NEXT) | instid1(VALU_DEP_1)
	v_sub_nc_u32_e32 v33, v1, v2
	v_cmp_ne_u32_e64 s2, s7, v33
	v_cmp_eq_u32_e32 vcc_lo, s7, v33
	s_delay_alu instid0(VALU_DEP_2) | instskip(NEXT) | instid1(SALU_CYCLE_1)
	s_or_b32 s3, s3, s2
	s_and_b32 exec_lo, exec_lo, s3
	s_cbranch_execz .LBB10_12
; %bb.2:
	s_clause 0x1
	s_load_b64 s[10:11], s[0:1], 0x20
	s_load_b64 s[8:9], s[0:1], 0x0
	v_ashrrev_i32_e32 v32, 31, v31
	v_ashrrev_i32_e32 v34, 31, v33
	s_delay_alu instid0(VALU_DEP_2)
	v_dual_mov_b32 v3, v31 :: v_dual_mov_b32 v4, v32
	s_waitcnt lgkmcnt(0)
	v_dual_mov_b32 v1, s10 :: v_dual_mov_b32 v2, s11
	s_and_saveexec_b32 s3, s2
; %bb.3:
	v_mad_i64_i32 v[3:4], null, v31, s7, v[33:34]
	v_dual_mov_b32 v1, s8 :: v_dual_mov_b32 v2, s9
; %bb.4:
	s_or_b32 exec_lo, exec_lo, s3
	v_lshlrev_b32_e32 v0, 4, v0
	s_delay_alu instid0(VALU_DEP_3) | instskip(NEXT) | instid1(VALU_DEP_2)
	v_lshlrev_b64 v[3:4], 10, v[3:4]
	v_and_b32_e32 v16, 0x1f0, v0
	s_delay_alu instid0(VALU_DEP_2) | instskip(NEXT) | instid1(VALU_DEP_1)
	v_add_co_u32 v0, s3, v1, v3
	v_add_co_ci_u32_e64 v1, s3, v2, v4, s3
	s_delay_alu instid0(VALU_DEP_3) | instskip(NEXT) | instid1(VALU_DEP_1)
	v_lshlrev_b32_e32 v37, 1, v16
	v_add_co_u32 v0, s3, v0, v37
	s_delay_alu instid0(VALU_DEP_1)
	v_add_co_ci_u32_e64 v1, s3, 0, v1, s3
	s_clause 0x1
	global_load_b128 v[4:7], v[0:1], off
	global_load_b128 v[12:15], v[0:1], off offset:16
	s_waitcnt vmcnt(1)
	v_cvt_f32_f16_e32 v0, v4
	v_lshrrev_b32_e32 v1, 16, v4
	v_cvt_f32_f16_e32 v2, v5
	v_lshrrev_b32_e32 v3, 16, v5
	;; [unrolled: 2-line block ×4, first 2 shown]
	s_waitcnt vmcnt(0)
	v_cvt_f32_f16_e32 v8, v12
	v_lshrrev_b32_e32 v9, 16, v12
	v_cvt_f32_f16_e32 v10, v13
	v_lshrrev_b32_e32 v11, 16, v13
	;; [unrolled: 2-line block ×4, first 2 shown]
	v_cvt_f32_f16_e32 v1, v1
	v_cvt_f32_f16_e32 v3, v3
	;; [unrolled: 1-line block ×8, first 2 shown]
	s_and_saveexec_b32 s3, s2
	s_cbranch_execz .LBB10_6
; %bb.5:
	v_mbcnt_lo_u32_b32 v18, -1, 0
	s_delay_alu instid0(VALU_DEP_1) | instskip(SKIP_1) | instid1(VALU_DEP_2)
	v_xor_b32_e32 v19, 16, v18
	v_xor_b32_e32 v20, 8, v18
	v_cmp_gt_i32_e64 s2, 32, v19
	s_delay_alu instid0(VALU_DEP_1) | instskip(NEXT) | instid1(VALU_DEP_3)
	v_cndmask_b32_e64 v19, v18, v19, s2
	v_cmp_gt_i32_e64 s2, 32, v20
	s_delay_alu instid0(VALU_DEP_2) | instskip(NEXT) | instid1(VALU_DEP_2)
	v_lshlrev_b32_e32 v19, 2, v19
	v_cndmask_b32_e64 v20, v18, v20, s2
	s_delay_alu instid0(VALU_DEP_1) | instskip(NEXT) | instid1(VALU_DEP_1)
	v_dual_mul_f32 v17, v1, v1 :: v_dual_lshlrev_b32 v20, 2, v20
	v_fmac_f32_e32 v17, v0, v0
	s_delay_alu instid0(VALU_DEP_1) | instskip(NEXT) | instid1(VALU_DEP_1)
	v_fmac_f32_e32 v17, v2, v2
	v_fmac_f32_e32 v17, v3, v3
	s_delay_alu instid0(VALU_DEP_1) | instskip(NEXT) | instid1(VALU_DEP_1)
	v_fmac_f32_e32 v17, v4, v4
	;; [unrolled: 3-line block ×7, first 2 shown]
	v_fmac_f32_e32 v17, v15, v15
	ds_bpermute_b32 v19, v19, v17
	s_waitcnt lgkmcnt(0)
	v_add_f32_e32 v17, v17, v19
	ds_bpermute_b32 v19, v20, v17
	v_xor_b32_e32 v20, 4, v18
	s_delay_alu instid0(VALU_DEP_1) | instskip(NEXT) | instid1(VALU_DEP_1)
	v_cmp_gt_i32_e64 s2, 32, v20
	v_cndmask_b32_e64 v20, v18, v20, s2
	s_waitcnt lgkmcnt(0)
	s_delay_alu instid0(VALU_DEP_1) | instskip(SKIP_2) | instid1(VALU_DEP_1)
	v_dual_add_f32 v17, v17, v19 :: v_dual_lshlrev_b32 v20, 2, v20
	ds_bpermute_b32 v19, v20, v17
	v_xor_b32_e32 v20, 2, v18
	v_cmp_gt_i32_e64 s2, 32, v20
	s_delay_alu instid0(VALU_DEP_1) | instskip(SKIP_1) | instid1(VALU_DEP_1)
	v_cndmask_b32_e64 v20, v18, v20, s2
	s_waitcnt lgkmcnt(0)
	v_dual_add_f32 v17, v17, v19 :: v_dual_lshlrev_b32 v20, 2, v20
	ds_bpermute_b32 v19, v20, v17
	v_xor_b32_e32 v20, 1, v18
	s_delay_alu instid0(VALU_DEP_1) | instskip(NEXT) | instid1(VALU_DEP_1)
	v_cmp_gt_i32_e64 s2, 32, v20
	v_cndmask_b32_e64 v18, v18, v20, s2
	s_waitcnt lgkmcnt(0)
	s_delay_alu instid0(VALU_DEP_1) | instskip(SKIP_4) | instid1(VALU_DEP_1)
	v_dual_add_f32 v17, v17, v19 :: v_dual_lshlrev_b32 v18, 2, v18
	v_mov_b32_e32 v19, s4
	ds_bpermute_b32 v18, v18, v17
	s_waitcnt lgkmcnt(0)
	v_add_f32_e32 v17, v17, v18
	v_fmamk_f32 v17, v17, 0x3b000000, v19
	s_delay_alu instid0(VALU_DEP_1) | instskip(SKIP_1) | instid1(VALU_DEP_1)
	v_mul_f32_e32 v18, 0x4b800000, v17
	v_cmp_gt_f32_e64 s2, 0x800000, v17
	v_cndmask_b32_e64 v17, v17, v18, s2
	s_delay_alu instid0(VALU_DEP_1) | instskip(SKIP_2) | instid1(VALU_DEP_1)
	v_rsq_f32_e32 v17, v17
	s_waitcnt_depctr 0xfff
	v_mul_f32_e32 v18, 0x45800000, v17
	v_cndmask_b32_e64 v17, v17, v18, s2
	s_delay_alu instid0(VALU_DEP_1)
	v_mul_f32_e32 v0, v17, v0
	v_mul_f32_e32 v1, v17, v1
	;; [unrolled: 1-line block ×16, first 2 shown]
.LBB10_6:
	s_or_b32 exec_lo, exec_lo, s3
	v_lshlrev_b64 v[35:36], 3, v[31:32]
	s_mov_b32 s3, exec_lo
	v_cmpx_lt_u32_e32 0x1bf, v16
	s_cbranch_execz .LBB10_8
; %bb.7:
	s_load_b128 s[16:19], s[0:1], 0x38
	v_add_nc_u32_e32 v16, 0xfffffe40, v16
	v_mov_b32_e32 v20, 0
	s_delay_alu instid0(VALU_DEP_2) | instskip(SKIP_2) | instid1(VALU_DEP_1)
	v_lshrrev_b32_e32 v19, 1, v16
	s_waitcnt lgkmcnt(0)
	v_add_co_u32 v17, s2, s16, v35
	v_add_co_ci_u32_e64 v18, s2, s17, v36, s2
	global_load_b64 v[17:18], v[17:18], off
	s_waitcnt vmcnt(0)
	v_lshlrev_b64 v[16:17], 8, v[17:18]
	v_lshlrev_b64 v[18:19], 2, v[19:20]
	s_delay_alu instid0(VALU_DEP_2) | instskip(NEXT) | instid1(VALU_DEP_1)
	v_add_co_u32 v16, s2, s18, v16
	v_add_co_ci_u32_e64 v17, s2, s19, v17, s2
	s_delay_alu instid0(VALU_DEP_2) | instskip(NEXT) | instid1(VALU_DEP_1)
	v_add_co_u32 v16, s2, v16, v18
	v_add_co_ci_u32_e64 v17, s2, v17, v19, s2
	s_clause 0x3
	global_load_b128 v[38:41], v[16:17], off offset:128
	global_load_b128 v[42:45], v[16:17], off
	global_load_b128 v[46:49], v[16:17], off offset:144
	global_load_b128 v[50:53], v[16:17], off offset:16
	s_waitcnt vmcnt(3)
	v_mul_f32_e32 v17, v38, v1
	s_waitcnt vmcnt(2)
	v_dual_mul_f32 v16, v42, v1 :: v_dual_mul_f32 v1, v39, v3
	v_dual_mul_f32 v18, v43, v3 :: v_dual_mul_f32 v3, v40, v5
	;; [unrolled: 1-line block ×3, first 2 shown]
	s_waitcnt vmcnt(1)
	v_dual_mul_f32 v22, v45, v7 :: v_dual_mul_f32 v7, v46, v9
	s_waitcnt vmcnt(0)
	v_dual_mul_f32 v24, v50, v9 :: v_dual_mul_f32 v9, v47, v11
	v_dual_mul_f32 v26, v51, v11 :: v_dual_mul_f32 v11, v48, v13
	;; [unrolled: 1-line block ×3, first 2 shown]
	v_mul_f32_e32 v30, v53, v15
	v_fma_f32 v15, v42, v0, -v17
	v_fmac_f32_e32 v16, v38, v0
	v_fma_f32 v17, v43, v2, -v1
	v_fmac_f32_e32 v18, v39, v2
	;; [unrolled: 2-line block ×8, first 2 shown]
	v_mov_b32_e32 v0, v15
	v_dual_mov_b32 v1, v16 :: v_dual_mov_b32 v2, v17
	v_dual_mov_b32 v3, v18 :: v_dual_mov_b32 v4, v19
	;; [unrolled: 1-line block ×7, first 2 shown]
	v_mov_b32_e32 v15, v30
.LBB10_8:
	s_or_b32 exec_lo, exec_lo, s3
	s_mov_b32 s2, 0
                                        ; implicit-def: $vgpr23
                                        ; implicit-def: $vgpr19
                                        ; implicit-def: $vgpr24_vgpr25
	s_and_saveexec_b32 s3, vcc_lo
	s_delay_alu instid0(SALU_CYCLE_1)
	s_xor_b32 s6, exec_lo, s3
	s_cbranch_execnz .LBB10_13
; %bb.9:
	s_and_not1_saveexec_b32 s0, s6
	s_cbranch_execnz .LBB10_20
.LBB10_10:
	s_or_b32 exec_lo, exec_lo, s0
	s_delay_alu instid0(SALU_CYCLE_1)
	s_and_b32 exec_lo, exec_lo, s2
.LBB10_11:
	v_add_co_u32 v0, vcc_lo, v24, v37
	v_add_co_ci_u32_e32 v1, vcc_lo, 0, v25, vcc_lo
	s_clause 0x1
	global_store_b128 v[0:1], v[16:19], off
	global_store_b128 v[0:1], v[20:23], off offset:16
.LBB10_12:
	s_nop 0
	s_sendmsg sendmsg(MSG_DEALLOC_VGPRS)
	s_endpgm
.LBB10_13:
	s_load_b64 s[2:3], s[0:1], 0x30
	s_mov_b32 s4, 0
	s_mov_b32 s13, exec_lo
                                        ; implicit-def: $vgpr23
                                        ; implicit-def: $vgpr19
                                        ; implicit-def: $vgpr24_vgpr25
	s_waitcnt lgkmcnt(0)
	v_add_co_u32 v16, vcc_lo, s2, v35
	v_add_co_ci_u32_e32 v17, vcc_lo, s3, v36, vcc_lo
	global_load_b64 v[20:21], v[16:17], off
	s_waitcnt vmcnt(0)
	v_cmpx_lt_i64_e32 -1, v[20:21]
	s_cbranch_execz .LBB10_19
; %bb.14:
	s_ashr_i32 s14, s12, 31
	v_mov_b32_e32 v16, 0
	v_or_b32_e32 v17, s14, v21
	s_delay_alu instid0(VALU_DEP_1) | instskip(SKIP_1) | instid1(SALU_CYCLE_1)
	v_cmp_ne_u64_e32 vcc_lo, 0, v[16:17]
                                        ; implicit-def: $vgpr17_vgpr18
	s_and_saveexec_b32 s2, vcc_lo
	s_xor_b32 s3, exec_lo, s2
	s_cbranch_execz .LBB10_16
; %bb.15:
	s_add_u32 s10, s12, s14
	s_mov_b32 s4, s14
	s_mov_b32 s5, s14
	s_addc_u32 s11, s14, s14
	s_delay_alu instid0(SALU_CYCLE_1) | instskip(NEXT) | instid1(SALU_CYCLE_1)
	s_xor_b64 s[10:11], s[10:11], s[4:5]
	v_cvt_f32_u32_e32 v16, s10
	v_cvt_f32_u32_e32 v17, s11
	s_sub_u32 s2, 0, s10
	s_subb_u32 s15, 0, s11
	s_delay_alu instid0(VALU_DEP_1) | instskip(NEXT) | instid1(VALU_DEP_1)
	v_fmamk_f32 v16, v17, 0x4f800000, v16
	v_rcp_f32_e32 v16, v16
	s_waitcnt_depctr 0xfff
	v_mul_f32_e32 v16, 0x5f7ffffc, v16
	s_delay_alu instid0(VALU_DEP_1) | instskip(NEXT) | instid1(VALU_DEP_1)
	v_mul_f32_e32 v17, 0x2f800000, v16
	v_trunc_f32_e32 v17, v17
	s_delay_alu instid0(VALU_DEP_1) | instskip(SKIP_1) | instid1(VALU_DEP_2)
	v_fmamk_f32 v16, v17, 0xcf800000, v16
	v_cvt_u32_f32_e32 v17, v17
	v_cvt_u32_f32_e32 v16, v16
	s_delay_alu instid0(VALU_DEP_2) | instskip(NEXT) | instid1(VALU_DEP_2)
	v_mul_lo_u32 v18, s2, v17
	v_mul_hi_u32 v19, s2, v16
	v_mul_lo_u32 v22, s15, v16
	s_delay_alu instid0(VALU_DEP_2) | instskip(SKIP_1) | instid1(VALU_DEP_2)
	v_add_nc_u32_e32 v18, v19, v18
	v_mul_lo_u32 v19, s2, v16
	v_add_nc_u32_e32 v18, v18, v22
	s_delay_alu instid0(VALU_DEP_2) | instskip(NEXT) | instid1(VALU_DEP_2)
	v_mul_hi_u32 v22, v16, v19
	v_mul_lo_u32 v23, v16, v18
	v_mul_hi_u32 v24, v16, v18
	v_mul_hi_u32 v25, v17, v19
	v_mul_lo_u32 v19, v17, v19
	v_mul_hi_u32 v26, v17, v18
	v_mul_lo_u32 v18, v17, v18
	v_add_co_u32 v22, vcc_lo, v22, v23
	v_add_co_ci_u32_e32 v23, vcc_lo, 0, v24, vcc_lo
	s_delay_alu instid0(VALU_DEP_2) | instskip(NEXT) | instid1(VALU_DEP_2)
	v_add_co_u32 v19, vcc_lo, v22, v19
	v_add_co_ci_u32_e32 v19, vcc_lo, v23, v25, vcc_lo
	v_add_co_ci_u32_e32 v22, vcc_lo, 0, v26, vcc_lo
	v_ashrrev_i32_e32 v25, 31, v21
	s_delay_alu instid0(VALU_DEP_3) | instskip(NEXT) | instid1(VALU_DEP_3)
	v_add_co_u32 v18, vcc_lo, v19, v18
	v_add_co_ci_u32_e32 v19, vcc_lo, 0, v22, vcc_lo
	s_delay_alu instid0(VALU_DEP_2) | instskip(NEXT) | instid1(VALU_DEP_2)
	v_add_co_u32 v16, vcc_lo, v16, v18
	v_add_co_ci_u32_e32 v17, vcc_lo, v17, v19, vcc_lo
	s_delay_alu instid0(VALU_DEP_2) | instskip(SKIP_1) | instid1(VALU_DEP_3)
	v_mul_hi_u32 v18, s2, v16
	v_mul_lo_u32 v22, s15, v16
	v_mul_lo_u32 v19, s2, v17
	s_delay_alu instid0(VALU_DEP_1) | instskip(SKIP_1) | instid1(VALU_DEP_2)
	v_add_nc_u32_e32 v18, v18, v19
	v_mul_lo_u32 v19, s2, v16
	v_add_nc_u32_e32 v18, v18, v22
	s_delay_alu instid0(VALU_DEP_2) | instskip(NEXT) | instid1(VALU_DEP_2)
	v_mul_hi_u32 v22, v16, v19
	v_mul_lo_u32 v23, v16, v18
	v_mul_hi_u32 v24, v16, v18
	v_mul_hi_u32 v26, v17, v19
	v_mul_lo_u32 v19, v17, v19
	v_mul_hi_u32 v27, v17, v18
	v_mul_lo_u32 v18, v17, v18
	v_add_co_u32 v22, vcc_lo, v22, v23
	v_add_co_ci_u32_e32 v23, vcc_lo, 0, v24, vcc_lo
	s_delay_alu instid0(VALU_DEP_2) | instskip(NEXT) | instid1(VALU_DEP_2)
	v_add_co_u32 v19, vcc_lo, v22, v19
	v_add_co_ci_u32_e32 v19, vcc_lo, v23, v26, vcc_lo
	v_add_co_ci_u32_e32 v22, vcc_lo, 0, v27, vcc_lo
	v_add_co_u32 v23, vcc_lo, v20, v25
	v_add_co_ci_u32_e32 v24, vcc_lo, v21, v25, vcc_lo
	s_delay_alu instid0(VALU_DEP_4) | instskip(NEXT) | instid1(VALU_DEP_4)
	v_add_co_u32 v18, vcc_lo, v19, v18
	v_add_co_ci_u32_e32 v19, vcc_lo, 0, v22, vcc_lo
	s_delay_alu instid0(VALU_DEP_4) | instskip(NEXT) | instid1(VALU_DEP_3)
	v_xor_b32_e32 v26, v23, v25
	v_add_co_u32 v22, vcc_lo, v16, v18
	s_delay_alu instid0(VALU_DEP_3) | instskip(SKIP_1) | instid1(VALU_DEP_3)
	v_add_co_ci_u32_e32 v27, vcc_lo, v17, v19, vcc_lo
	v_xor_b32_e32 v24, v24, v25
	v_mul_hi_u32 v28, v26, v22
	s_delay_alu instid0(VALU_DEP_3) | instskip(NEXT) | instid1(VALU_DEP_3)
	v_mad_u64_u32 v[16:17], null, v26, v27, 0
	v_mad_u64_u32 v[18:19], null, v24, v22, 0
	;; [unrolled: 1-line block ×3, first 2 shown]
	s_delay_alu instid0(VALU_DEP_3) | instskip(NEXT) | instid1(VALU_DEP_4)
	v_add_co_u32 v16, vcc_lo, v28, v16
	v_add_co_ci_u32_e32 v17, vcc_lo, 0, v17, vcc_lo
	s_delay_alu instid0(VALU_DEP_2) | instskip(NEXT) | instid1(VALU_DEP_2)
	v_add_co_u32 v16, vcc_lo, v16, v18
	v_add_co_ci_u32_e32 v16, vcc_lo, v17, v19, vcc_lo
	v_add_co_ci_u32_e32 v17, vcc_lo, 0, v23, vcc_lo
	s_delay_alu instid0(VALU_DEP_2) | instskip(NEXT) | instid1(VALU_DEP_2)
	v_add_co_u32 v18, vcc_lo, v16, v22
	v_add_co_ci_u32_e32 v19, vcc_lo, 0, v17, vcc_lo
	s_delay_alu instid0(VALU_DEP_2) | instskip(SKIP_1) | instid1(VALU_DEP_3)
	v_mul_lo_u32 v22, s11, v18
	v_mad_u64_u32 v[16:17], null, s10, v18, 0
	v_mul_lo_u32 v23, s10, v19
	s_delay_alu instid0(VALU_DEP_2) | instskip(NEXT) | instid1(VALU_DEP_2)
	v_sub_co_u32 v16, vcc_lo, v26, v16
	v_add3_u32 v17, v17, v23, v22
	s_delay_alu instid0(VALU_DEP_1) | instskip(NEXT) | instid1(VALU_DEP_1)
	v_sub_nc_u32_e32 v22, v24, v17
	v_subrev_co_ci_u32_e64 v22, s2, s11, v22, vcc_lo
	v_add_co_u32 v23, s2, v18, 2
	s_delay_alu instid0(VALU_DEP_1) | instskip(SKIP_3) | instid1(VALU_DEP_3)
	v_add_co_ci_u32_e64 v26, s2, 0, v19, s2
	v_sub_co_u32 v27, s2, v16, s10
	v_sub_co_ci_u32_e32 v17, vcc_lo, v24, v17, vcc_lo
	v_subrev_co_ci_u32_e64 v22, s2, 0, v22, s2
	v_cmp_le_u32_e32 vcc_lo, s10, v27
	s_delay_alu instid0(VALU_DEP_3) | instskip(SKIP_1) | instid1(VALU_DEP_4)
	v_cmp_eq_u32_e64 s2, s11, v17
	v_cndmask_b32_e64 v24, 0, -1, vcc_lo
	v_cmp_le_u32_e32 vcc_lo, s11, v22
	v_cndmask_b32_e64 v27, 0, -1, vcc_lo
	v_cmp_le_u32_e32 vcc_lo, s10, v16
	;; [unrolled: 2-line block ×3, first 2 shown]
	v_cndmask_b32_e64 v28, 0, -1, vcc_lo
	v_cmp_eq_u32_e32 vcc_lo, s11, v22
	s_delay_alu instid0(VALU_DEP_2) | instskip(SKIP_3) | instid1(VALU_DEP_3)
	v_cndmask_b32_e64 v16, v28, v16, s2
	v_cndmask_b32_e32 v22, v27, v24, vcc_lo
	v_add_co_u32 v24, vcc_lo, v18, 1
	v_add_co_ci_u32_e32 v27, vcc_lo, 0, v19, vcc_lo
	v_cmp_ne_u32_e32 vcc_lo, 0, v22
	s_delay_alu instid0(VALU_DEP_2) | instskip(SKIP_2) | instid1(VALU_DEP_3)
	v_dual_cndmask_b32 v17, v27, v26 :: v_dual_cndmask_b32 v22, v24, v23
	v_cmp_ne_u32_e32 vcc_lo, 0, v16
	v_xor_b32_e32 v16, s4, v25
	v_dual_cndmask_b32 v18, v18, v22 :: v_dual_cndmask_b32 v17, v19, v17
	v_xor_b32_e32 v19, s5, v25
	s_delay_alu instid0(VALU_DEP_2) | instskip(NEXT) | instid1(VALU_DEP_2)
	v_xor_b32_e32 v18, v18, v16
	v_xor_b32_e32 v22, v17, v19
	s_delay_alu instid0(VALU_DEP_2) | instskip(NEXT) | instid1(VALU_DEP_2)
	v_sub_co_u32 v17, vcc_lo, v18, v16
	v_sub_co_ci_u32_e32 v18, vcc_lo, v22, v19, vcc_lo
.LBB10_16:
	s_or_saveexec_b32 s4, s3
	s_load_b64 s[2:3], s[0:1], 0x28
	s_xor_b32 exec_lo, exec_lo, s4
	s_cbranch_execz .LBB10_18
; %bb.17:
	v_cvt_f32_u32_e32 v16, s12
	s_sub_i32 s5, 0, s12
	s_delay_alu instid0(VALU_DEP_1) | instskip(SKIP_2) | instid1(VALU_DEP_1)
	v_rcp_iflag_f32_e32 v16, v16
	s_waitcnt_depctr 0xfff
	v_mul_f32_e32 v16, 0x4f7ffffe, v16
	v_cvt_u32_f32_e32 v16, v16
	s_delay_alu instid0(VALU_DEP_1) | instskip(NEXT) | instid1(VALU_DEP_1)
	v_mul_lo_u32 v17, s5, v16
	v_mul_hi_u32 v17, v16, v17
	s_delay_alu instid0(VALU_DEP_1) | instskip(NEXT) | instid1(VALU_DEP_1)
	v_add_nc_u32_e32 v16, v16, v17
	v_mul_hi_u32 v16, v20, v16
	s_delay_alu instid0(VALU_DEP_1) | instskip(SKIP_1) | instid1(VALU_DEP_2)
	v_mul_lo_u32 v17, v16, s12
	v_add_nc_u32_e32 v18, 1, v16
	v_sub_nc_u32_e32 v17, v20, v17
	s_delay_alu instid0(VALU_DEP_1) | instskip(SKIP_1) | instid1(VALU_DEP_2)
	v_subrev_nc_u32_e32 v19, s12, v17
	v_cmp_le_u32_e32 vcc_lo, s12, v17
	v_dual_cndmask_b32 v17, v17, v19 :: v_dual_cndmask_b32 v16, v16, v18
	s_delay_alu instid0(VALU_DEP_1) | instskip(NEXT) | instid1(VALU_DEP_2)
	v_cmp_le_u32_e32 vcc_lo, s12, v17
	v_add_nc_u32_e32 v18, 1, v16
	s_delay_alu instid0(VALU_DEP_1)
	v_dual_cndmask_b32 v17, v16, v18 :: v_dual_mov_b32 v18, 0
.LBB10_18:
	s_or_b32 exec_lo, exec_lo, s4
	s_load_b128 s[16:19], s[0:1], 0x70
	s_delay_alu instid0(VALU_DEP_1) | instskip(NEXT) | instid1(VALU_DEP_2)
	v_mul_lo_u32 v19, v18, s12
	v_mul_lo_u32 v24, v17, s14
	v_mad_u64_u32 v[22:23], null, v17, s12, 0
	v_cvt_f16_f32_e32 v0, v0
	v_cvt_f16_f32_e32 v1, v1
	;; [unrolled: 1-line block ×6, first 2 shown]
	v_pack_b32_f16 v16, v0, v1
	v_cvt_f16_f32_e32 v6, v6
	v_cvt_f16_f32_e32 v7, v7
	;; [unrolled: 1-line block ×4, first 2 shown]
	s_mov_b32 s4, exec_lo
	s_waitcnt lgkmcnt(0)
	v_mad_u64_u32 v[0:1], null, v17, s16, s[2:3]
	v_mul_lo_u32 v25, v17, s17
	v_mul_lo_u32 v26, v18, s16
	v_pack_b32_f16 v17, v2, v3
	v_add3_u32 v2, v23, v24, v19
	v_sub_co_u32 v3, vcc_lo, v20, v22
	v_pack_b32_f16 v18, v4, v5
	v_cvt_f16_f32_e32 v4, v10
	s_delay_alu instid0(VALU_DEP_4)
	v_sub_co_ci_u32_e32 v2, vcc_lo, v21, v2, vcc_lo
	v_add3_u32 v1, v26, v1, v25
	v_cvt_f16_f32_e32 v5, v11
	v_cvt_f16_f32_e32 v10, v12
	;; [unrolled: 1-line block ×3, first 2 shown]
	v_pack_b32_f16 v19, v6, v7
	v_mad_u64_u32 v[24:25], null, v3, s18, v[0:1]
	v_mul_lo_u32 v0, v3, s19
	v_mul_lo_u32 v1, v2, s18
	v_cvt_f16_f32_e32 v2, v14
	v_cvt_f16_f32_e32 v3, v15
	v_pack_b32_f16 v20, v8, v9
	v_pack_b32_f16 v21, v4, v5
	;; [unrolled: 1-line block ×3, first 2 shown]
	s_delay_alu instid0(VALU_DEP_4)
	v_pack_b32_f16 v23, v2, v3
	v_add3_u32 v25, v1, v25, v0
.LBB10_19:
	s_or_b32 exec_lo, exec_lo, s13
	s_delay_alu instid0(SALU_CYCLE_1)
	s_and_b32 s2, s4, exec_lo
                                        ; implicit-def: $vgpr0_vgpr1_vgpr2_vgpr3_vgpr4_vgpr5_vgpr6_vgpr7_vgpr8_vgpr9_vgpr10_vgpr11_vgpr12_vgpr13_vgpr14_vgpr15
                                        ; implicit-def: $vgpr33
                                        ; implicit-def: $vgpr31_vgpr32
	s_and_not1_saveexec_b32 s0, s6
	s_cbranch_execz .LBB10_10
.LBB10_20:
	v_cvt_f16_f32_e32 v0, v0
	v_cvt_f16_f32_e32 v1, v1
	;; [unrolled: 1-line block ×6, first 2 shown]
	v_pack_b32_f16 v16, v0, v1
	v_mad_i64_i32 v[0:1], null, v31, s7, v[33:34]
	v_cvt_f16_f32_e32 v6, v6
	v_cvt_f16_f32_e32 v7, v7
	v_pack_b32_f16 v17, v2, v3
	v_pack_b32_f16 v18, v4, v5
	v_cvt_f16_f32_e32 v2, v8
	v_cvt_f16_f32_e32 v3, v9
	v_lshlrev_b64 v[0:1], 10, v[0:1]
	v_pack_b32_f16 v19, v6, v7
	v_cvt_f16_f32_e32 v4, v10
	v_cvt_f16_f32_e32 v5, v11
	;; [unrolled: 1-line block ×6, first 2 shown]
	v_add_co_u32 v24, vcc_lo, s8, v0
	v_pack_b32_f16 v20, v2, v3
	v_pack_b32_f16 v21, v4, v5
	v_pack_b32_f16 v22, v6, v7
	v_pack_b32_f16 v23, v8, v9
	v_add_co_ci_u32_e32 v25, vcc_lo, s9, v1, vcc_lo
	s_or_b32 s2, s2, exec_lo
	s_or_b32 exec_lo, exec_lo, s0
	s_delay_alu instid0(SALU_CYCLE_1)
	s_and_b32 exec_lo, exec_lo, s2
	s_cbranch_execnz .LBB10_11
	s_branch .LBB10_12
	.section	.rodata,"a",@progbits
	.p2align	6, 0x0
	.amdhsa_kernel _ZN4vllm21deepseek_v4_fused_ops30fusedDeepseekV4FullCacheKernelIN3c104HalfELb0ELb0EEEvPT_PhllPKS4_S6_PKlSA_PKfSC_SC_fiiiill
		.amdhsa_group_segment_fixed_size 0
		.amdhsa_private_segment_fixed_size 0
		.amdhsa_kernarg_size 384
		.amdhsa_user_sgpr_count 15
		.amdhsa_user_sgpr_dispatch_ptr 0
		.amdhsa_user_sgpr_queue_ptr 0
		.amdhsa_user_sgpr_kernarg_segment_ptr 1
		.amdhsa_user_sgpr_dispatch_id 0
		.amdhsa_user_sgpr_private_segment_size 0
		.amdhsa_wavefront_size32 1
		.amdhsa_uses_dynamic_stack 0
		.amdhsa_enable_private_segment 0
		.amdhsa_system_sgpr_workgroup_id_x 1
		.amdhsa_system_sgpr_workgroup_id_y 0
		.amdhsa_system_sgpr_workgroup_id_z 0
		.amdhsa_system_sgpr_workgroup_info 0
		.amdhsa_system_vgpr_workitem_id 0
		.amdhsa_next_free_vgpr 54
		.amdhsa_next_free_sgpr 20
		.amdhsa_reserve_vcc 1
		.amdhsa_float_round_mode_32 0
		.amdhsa_float_round_mode_16_64 0
		.amdhsa_float_denorm_mode_32 3
		.amdhsa_float_denorm_mode_16_64 3
		.amdhsa_dx10_clamp 1
		.amdhsa_ieee_mode 1
		.amdhsa_fp16_overflow 0
		.amdhsa_workgroup_processor_mode 1
		.amdhsa_memory_ordered 1
		.amdhsa_forward_progress 0
		.amdhsa_shared_vgpr_count 0
		.amdhsa_exception_fp_ieee_invalid_op 0
		.amdhsa_exception_fp_denorm_src 0
		.amdhsa_exception_fp_ieee_div_zero 0
		.amdhsa_exception_fp_ieee_overflow 0
		.amdhsa_exception_fp_ieee_underflow 0
		.amdhsa_exception_fp_ieee_inexact 0
		.amdhsa_exception_int_div_zero 0
	.end_amdhsa_kernel
	.section	.text._ZN4vllm21deepseek_v4_fused_ops30fusedDeepseekV4FullCacheKernelIN3c104HalfELb0ELb0EEEvPT_PhllPKS4_S6_PKlSA_PKfSC_SC_fiiiill,"axG",@progbits,_ZN4vllm21deepseek_v4_fused_ops30fusedDeepseekV4FullCacheKernelIN3c104HalfELb0ELb0EEEvPT_PhllPKS4_S6_PKlSA_PKfSC_SC_fiiiill,comdat
.Lfunc_end10:
	.size	_ZN4vllm21deepseek_v4_fused_ops30fusedDeepseekV4FullCacheKernelIN3c104HalfELb0ELb0EEEvPT_PhllPKS4_S6_PKlSA_PKfSC_SC_fiiiill, .Lfunc_end10-_ZN4vllm21deepseek_v4_fused_ops30fusedDeepseekV4FullCacheKernelIN3c104HalfELb0ELb0EEEvPT_PhllPKS4_S6_PKlSA_PKfSC_SC_fiiiill
                                        ; -- End function
	.section	.AMDGPU.csdata,"",@progbits
; Kernel info:
; codeLenInByte = 3088
; NumSgprs: 22
; NumVgprs: 54
; ScratchSize: 0
; MemoryBound: 0
; FloatMode: 240
; IeeeMode: 1
; LDSByteSize: 0 bytes/workgroup (compile time only)
; SGPRBlocks: 2
; VGPRBlocks: 6
; NumSGPRsForWavesPerEU: 22
; NumVGPRsForWavesPerEU: 54
; Occupancy: 16
; WaveLimiterHint : 1
; COMPUTE_PGM_RSRC2:SCRATCH_EN: 0
; COMPUTE_PGM_RSRC2:USER_SGPR: 15
; COMPUTE_PGM_RSRC2:TRAP_HANDLER: 0
; COMPUTE_PGM_RSRC2:TGID_X_EN: 1
; COMPUTE_PGM_RSRC2:TGID_Y_EN: 0
; COMPUTE_PGM_RSRC2:TGID_Z_EN: 0
; COMPUTE_PGM_RSRC2:TIDIG_COMP_CNT: 0
	.section	.text._ZN4vllm21deepseek_v4_fused_ops30fusedDeepseekV4FullCacheKernelIN3c108BFloat16ELb0ELb0EEEvPT_PhllPKS4_S6_PKlSA_PKfSC_SC_fiiiill,"axG",@progbits,_ZN4vllm21deepseek_v4_fused_ops30fusedDeepseekV4FullCacheKernelIN3c108BFloat16ELb0ELb0EEEvPT_PhllPKS4_S6_PKlSA_PKfSC_SC_fiiiill,comdat
	.protected	_ZN4vllm21deepseek_v4_fused_ops30fusedDeepseekV4FullCacheKernelIN3c108BFloat16ELb0ELb0EEEvPT_PhllPKS4_S6_PKlSA_PKfSC_SC_fiiiill ; -- Begin function _ZN4vllm21deepseek_v4_fused_ops30fusedDeepseekV4FullCacheKernelIN3c108BFloat16ELb0ELb0EEEvPT_PhllPKS4_S6_PKlSA_PKfSC_SC_fiiiill
	.globl	_ZN4vllm21deepseek_v4_fused_ops30fusedDeepseekV4FullCacheKernelIN3c108BFloat16ELb0ELb0EEEvPT_PhllPKS4_S6_PKlSA_PKfSC_SC_fiiiill
	.p2align	8
	.type	_ZN4vllm21deepseek_v4_fused_ops30fusedDeepseekV4FullCacheKernelIN3c108BFloat16ELb0ELb0EEEvPT_PhllPKS4_S6_PKlSA_PKfSC_SC_fiiiill,@function
_ZN4vllm21deepseek_v4_fused_ops30fusedDeepseekV4FullCacheKernelIN3c108BFloat16ELb0ELb0EEEvPT_PhllPKS4_S6_PKlSA_PKfSC_SC_fiiiill: ; @_ZN4vllm21deepseek_v4_fused_ops30fusedDeepseekV4FullCacheKernelIN3c108BFloat16ELb0ELb0EEEvPT_PhllPKS4_S6_PKlSA_PKfSC_SC_fiiiill
; %bb.0:
	s_clause 0x1
	s_load_b128 s[4:7], s[0:1], 0x58
	s_load_b32 s3, s[0:1], 0x8c
	v_lshrrev_b32_e32 v3, 5, v0
	s_waitcnt lgkmcnt(0)
	s_add_i32 s2, s7, 1
	s_bfe_u32 s3, s3, 0xb0005
	s_abs_i32 s8, s2
	s_delay_alu instid0(SALU_CYCLE_1) | instskip(SKIP_1) | instid1(VALU_DEP_1)
	v_cvt_f32_u32_e32 v1, s8
	s_sub_i32 s9, 0, s8
	v_rcp_iflag_f32_e32 v1, v1
	s_waitcnt_depctr 0xfff
	v_mul_f32_e32 v1, 0x4f7ffffe, v1
	s_delay_alu instid0(VALU_DEP_1) | instskip(NEXT) | instid1(VALU_DEP_1)
	v_cvt_u32_f32_e32 v4, v1
	v_mul_lo_u32 v5, s9, v4
	v_mad_u64_u32 v[1:2], null, s15, s3, v[3:4]
	s_mov_b32 s3, exec_lo
	s_delay_alu instid0(VALU_DEP_2) | instskip(NEXT) | instid1(VALU_DEP_2)
	v_mul_hi_u32 v2, v4, v5
	v_sub_nc_u32_e32 v3, 0, v1
	s_delay_alu instid0(VALU_DEP_1) | instskip(NEXT) | instid1(VALU_DEP_3)
	v_max_i32_e32 v3, v1, v3
	v_add_nc_u32_e32 v2, v4, v2
	s_delay_alu instid0(VALU_DEP_1) | instskip(NEXT) | instid1(VALU_DEP_1)
	v_mul_hi_u32 v2, v3, v2
	v_mul_lo_u32 v4, v2, s8
	s_delay_alu instid0(VALU_DEP_1) | instskip(NEXT) | instid1(VALU_DEP_1)
	v_sub_nc_u32_e32 v3, v3, v4
	v_subrev_nc_u32_e32 v5, s8, v3
	v_cmp_le_u32_e32 vcc_lo, s8, v3
	s_delay_alu instid0(VALU_DEP_2) | instskip(NEXT) | instid1(VALU_DEP_1)
	v_dual_cndmask_b32 v3, v3, v5 :: v_dual_add_nc_u32 v4, 1, v2
	v_cndmask_b32_e32 v2, v2, v4, vcc_lo
	v_xor_b32_e32 v4, s2, v1
	s_delay_alu instid0(VALU_DEP_3) | instskip(NEXT) | instid1(VALU_DEP_3)
	v_cmp_le_u32_e32 vcc_lo, s8, v3
	v_add_nc_u32_e32 v5, 1, v2
	s_delay_alu instid0(VALU_DEP_3) | instskip(NEXT) | instid1(VALU_DEP_2)
	v_ashrrev_i32_e32 v4, 31, v4
	v_cndmask_b32_e32 v2, v2, v5, vcc_lo
	s_delay_alu instid0(VALU_DEP_1) | instskip(NEXT) | instid1(VALU_DEP_1)
	v_xor_b32_e32 v2, v2, v4
	v_sub_nc_u32_e32 v31, v2, v4
	s_delay_alu instid0(VALU_DEP_1)
	v_cmpx_gt_i32_e64 s5, v31
	s_cbranch_execz .LBB11_12
; %bb.1:
	v_mul_lo_u32 v2, v31, s2
	s_load_b32 s12, s[0:1], 0x68
	v_cmp_gt_i32_e64 s3, s6, v31
	s_delay_alu instid0(VALU_DEP_2) | instskip(NEXT) | instid1(VALU_DEP_1)
	v_sub_nc_u32_e32 v33, v1, v2
	v_cmp_ne_u32_e64 s2, s7, v33
	v_cmp_eq_u32_e32 vcc_lo, s7, v33
	s_delay_alu instid0(VALU_DEP_2) | instskip(NEXT) | instid1(SALU_CYCLE_1)
	s_or_b32 s3, s3, s2
	s_and_b32 exec_lo, exec_lo, s3
	s_cbranch_execz .LBB11_12
; %bb.2:
	s_clause 0x1
	s_load_b64 s[10:11], s[0:1], 0x20
	s_load_b64 s[8:9], s[0:1], 0x0
	v_ashrrev_i32_e32 v32, 31, v31
	v_ashrrev_i32_e32 v34, 31, v33
	s_delay_alu instid0(VALU_DEP_2)
	v_dual_mov_b32 v3, v31 :: v_dual_mov_b32 v4, v32
	s_waitcnt lgkmcnt(0)
	v_dual_mov_b32 v1, s10 :: v_dual_mov_b32 v2, s11
	s_and_saveexec_b32 s3, s2
; %bb.3:
	v_mad_i64_i32 v[3:4], null, v31, s7, v[33:34]
	v_dual_mov_b32 v1, s8 :: v_dual_mov_b32 v2, s9
; %bb.4:
	s_or_b32 exec_lo, exec_lo, s3
	v_lshlrev_b32_e32 v0, 4, v0
	s_delay_alu instid0(VALU_DEP_3) | instskip(NEXT) | instid1(VALU_DEP_2)
	v_lshlrev_b64 v[3:4], 10, v[3:4]
	v_and_b32_e32 v16, 0x1f0, v0
	s_delay_alu instid0(VALU_DEP_2) | instskip(NEXT) | instid1(VALU_DEP_1)
	v_add_co_u32 v0, s3, v1, v3
	v_add_co_ci_u32_e64 v1, s3, v2, v4, s3
	s_delay_alu instid0(VALU_DEP_3) | instskip(NEXT) | instid1(VALU_DEP_1)
	v_lshlrev_b32_e32 v43, 1, v16
	v_add_co_u32 v0, s3, v0, v43
	s_delay_alu instid0(VALU_DEP_1)
	v_add_co_ci_u32_e64 v1, s3, 0, v1, s3
	s_clause 0x1
	global_load_b128 v[4:7], v[0:1], off
	global_load_b128 v[12:15], v[0:1], off offset:16
	s_waitcnt vmcnt(1)
	v_lshlrev_b32_e32 v0, 16, v4
	v_and_b32_e32 v1, 0xffff0000, v4
	v_lshlrev_b32_e32 v2, 16, v5
	v_and_b32_e32 v3, 0xffff0000, v5
	;; [unrolled: 2-line block ×4, first 2 shown]
	s_waitcnt vmcnt(0)
	v_lshlrev_b32_e32 v8, 16, v12
	v_and_b32_e32 v9, 0xffff0000, v12
	v_lshlrev_b32_e32 v10, 16, v13
	v_and_b32_e32 v11, 0xffff0000, v13
	;; [unrolled: 2-line block ×4, first 2 shown]
	s_and_saveexec_b32 s3, s2
	s_cbranch_execz .LBB11_6
; %bb.5:
	v_mbcnt_lo_u32_b32 v18, -1, 0
	s_delay_alu instid0(VALU_DEP_1) | instskip(SKIP_1) | instid1(VALU_DEP_2)
	v_xor_b32_e32 v19, 16, v18
	v_xor_b32_e32 v20, 8, v18
	v_cmp_gt_i32_e64 s2, 32, v19
	s_delay_alu instid0(VALU_DEP_1) | instskip(NEXT) | instid1(VALU_DEP_3)
	v_cndmask_b32_e64 v19, v18, v19, s2
	v_cmp_gt_i32_e64 s2, 32, v20
	s_delay_alu instid0(VALU_DEP_2) | instskip(NEXT) | instid1(VALU_DEP_2)
	v_lshlrev_b32_e32 v19, 2, v19
	v_cndmask_b32_e64 v20, v18, v20, s2
	s_delay_alu instid0(VALU_DEP_1) | instskip(NEXT) | instid1(VALU_DEP_1)
	v_dual_mul_f32 v17, v1, v1 :: v_dual_lshlrev_b32 v20, 2, v20
	v_fmac_f32_e32 v17, v0, v0
	s_delay_alu instid0(VALU_DEP_1) | instskip(NEXT) | instid1(VALU_DEP_1)
	v_fmac_f32_e32 v17, v2, v2
	v_fmac_f32_e32 v17, v3, v3
	s_delay_alu instid0(VALU_DEP_1) | instskip(NEXT) | instid1(VALU_DEP_1)
	v_fmac_f32_e32 v17, v4, v4
	;; [unrolled: 3-line block ×7, first 2 shown]
	v_fmac_f32_e32 v17, v15, v15
	ds_bpermute_b32 v19, v19, v17
	s_waitcnt lgkmcnt(0)
	v_add_f32_e32 v17, v17, v19
	ds_bpermute_b32 v19, v20, v17
	v_xor_b32_e32 v20, 4, v18
	s_delay_alu instid0(VALU_DEP_1) | instskip(NEXT) | instid1(VALU_DEP_1)
	v_cmp_gt_i32_e64 s2, 32, v20
	v_cndmask_b32_e64 v20, v18, v20, s2
	s_waitcnt lgkmcnt(0)
	s_delay_alu instid0(VALU_DEP_1) | instskip(SKIP_2) | instid1(VALU_DEP_1)
	v_dual_add_f32 v17, v17, v19 :: v_dual_lshlrev_b32 v20, 2, v20
	ds_bpermute_b32 v19, v20, v17
	v_xor_b32_e32 v20, 2, v18
	v_cmp_gt_i32_e64 s2, 32, v20
	s_delay_alu instid0(VALU_DEP_1) | instskip(SKIP_1) | instid1(VALU_DEP_1)
	v_cndmask_b32_e64 v20, v18, v20, s2
	s_waitcnt lgkmcnt(0)
	v_dual_add_f32 v17, v17, v19 :: v_dual_lshlrev_b32 v20, 2, v20
	ds_bpermute_b32 v19, v20, v17
	v_xor_b32_e32 v20, 1, v18
	s_delay_alu instid0(VALU_DEP_1) | instskip(NEXT) | instid1(VALU_DEP_1)
	v_cmp_gt_i32_e64 s2, 32, v20
	v_cndmask_b32_e64 v18, v18, v20, s2
	s_waitcnt lgkmcnt(0)
	s_delay_alu instid0(VALU_DEP_1) | instskip(SKIP_4) | instid1(VALU_DEP_1)
	v_dual_add_f32 v17, v17, v19 :: v_dual_lshlrev_b32 v18, 2, v18
	v_mov_b32_e32 v19, s4
	ds_bpermute_b32 v18, v18, v17
	s_waitcnt lgkmcnt(0)
	v_add_f32_e32 v17, v17, v18
	v_fmamk_f32 v17, v17, 0x3b000000, v19
	s_delay_alu instid0(VALU_DEP_1) | instskip(SKIP_1) | instid1(VALU_DEP_1)
	v_mul_f32_e32 v18, 0x4b800000, v17
	v_cmp_gt_f32_e64 s2, 0x800000, v17
	v_cndmask_b32_e64 v17, v17, v18, s2
	s_delay_alu instid0(VALU_DEP_1) | instskip(SKIP_2) | instid1(VALU_DEP_1)
	v_rsq_f32_e32 v17, v17
	s_waitcnt_depctr 0xfff
	v_mul_f32_e32 v18, 0x45800000, v17
	v_cndmask_b32_e64 v17, v17, v18, s2
	s_delay_alu instid0(VALU_DEP_1)
	v_mul_f32_e32 v0, v17, v0
	v_mul_f32_e32 v1, v17, v1
	v_mul_f32_e32 v2, v17, v2
	v_mul_f32_e32 v3, v17, v3
	v_mul_f32_e32 v4, v17, v4
	v_mul_f32_e32 v5, v17, v5
	v_mul_f32_e32 v6, v17, v6
	v_mul_f32_e32 v7, v17, v7
	v_mul_f32_e32 v8, v17, v8
	v_mul_f32_e32 v9, v17, v9
	v_mul_f32_e32 v10, v17, v10
	v_mul_f32_e32 v11, v17, v11
	v_mul_f32_e32 v12, v17, v12
	v_mul_f32_e32 v13, v17, v13
	v_mul_f32_e32 v14, v17, v14
	v_mul_f32_e32 v15, v17, v15
.LBB11_6:
	s_or_b32 exec_lo, exec_lo, s3
	v_lshlrev_b64 v[41:42], 3, v[31:32]
	s_mov_b32 s3, exec_lo
	v_cmpx_lt_u32_e32 0x1bf, v16
	s_cbranch_execz .LBB11_8
; %bb.7:
	s_load_b128 s[16:19], s[0:1], 0x38
	v_add_nc_u32_e32 v16, 0xfffffe40, v16
	v_mov_b32_e32 v20, 0
	s_delay_alu instid0(VALU_DEP_2) | instskip(SKIP_2) | instid1(VALU_DEP_1)
	v_lshrrev_b32_e32 v19, 1, v16
	s_waitcnt lgkmcnt(0)
	v_add_co_u32 v17, s2, s16, v41
	v_add_co_ci_u32_e64 v18, s2, s17, v42, s2
	global_load_b64 v[17:18], v[17:18], off
	s_waitcnt vmcnt(0)
	v_lshlrev_b64 v[16:17], 8, v[17:18]
	v_lshlrev_b64 v[18:19], 2, v[19:20]
	s_delay_alu instid0(VALU_DEP_2) | instskip(NEXT) | instid1(VALU_DEP_1)
	v_add_co_u32 v16, s2, s18, v16
	v_add_co_ci_u32_e64 v17, s2, s19, v17, s2
	s_delay_alu instid0(VALU_DEP_2) | instskip(NEXT) | instid1(VALU_DEP_1)
	v_add_co_u32 v16, s2, v16, v18
	v_add_co_ci_u32_e64 v17, s2, v17, v19, s2
	s_clause 0x3
	global_load_b128 v[35:38], v[16:17], off offset:128
	global_load_b128 v[44:47], v[16:17], off
	global_load_b128 v[48:51], v[16:17], off offset:144
	global_load_b128 v[52:55], v[16:17], off offset:16
	s_waitcnt vmcnt(3)
	v_mul_f32_e32 v17, v35, v1
	s_waitcnt vmcnt(2)
	v_mul_f32_e32 v16, v44, v1
	v_mul_f32_e32 v1, v36, v3
	;; [unrolled: 1-line block ×3, first 2 shown]
	v_dual_mul_f32 v3, v37, v5 :: v_dual_mul_f32 v22, v47, v7
	v_mul_f32_e32 v20, v46, v5
	v_mul_f32_e32 v5, v38, v7
	s_waitcnt vmcnt(1)
	v_mul_f32_e32 v7, v48, v9
	s_waitcnt vmcnt(0)
	v_dual_mul_f32 v24, v52, v9 :: v_dual_mul_f32 v9, v49, v11
	v_dual_mul_f32 v26, v53, v11 :: v_dual_mul_f32 v11, v50, v13
	;; [unrolled: 1-line block ×3, first 2 shown]
	v_mul_f32_e32 v30, v55, v15
	v_fma_f32 v15, v44, v0, -v17
	v_fmac_f32_e32 v16, v35, v0
	v_fma_f32 v17, v45, v2, -v1
	v_fmac_f32_e32 v18, v36, v2
	;; [unrolled: 2-line block ×8, first 2 shown]
	v_mov_b32_e32 v0, v15
	v_dual_mov_b32 v1, v16 :: v_dual_mov_b32 v2, v17
	v_dual_mov_b32 v3, v18 :: v_dual_mov_b32 v4, v19
	;; [unrolled: 1-line block ×7, first 2 shown]
	v_mov_b32_e32 v15, v30
.LBB11_8:
	s_or_b32 exec_lo, exec_lo, s3
	s_mov_b32 s2, 0
                                        ; implicit-def: $vgpr39_vgpr40
                                        ; implicit-def: $vgpr37_vgpr38
                                        ; implicit-def: $vgpr35_vgpr36
                                        ; implicit-def: $vgpr28_vgpr29
                                        ; implicit-def: $vgpr26_vgpr27
                                        ; implicit-def: $vgpr22_vgpr23
                                        ; implicit-def: $vgpr20_vgpr21
                                        ; implicit-def: $vgpr18_vgpr19
                                        ; implicit-def: $vgpr16_vgpr17
	s_and_saveexec_b32 s3, vcc_lo
	s_delay_alu instid0(SALU_CYCLE_1)
	s_xor_b32 s6, exec_lo, s3
	s_cbranch_execnz .LBB11_13
; %bb.9:
	s_and_not1_saveexec_b32 s0, s6
	s_cbranch_execnz .LBB11_84
.LBB11_10:
	s_or_b32 exec_lo, exec_lo, s0
	s_delay_alu instid0(SALU_CYCLE_1)
	s_and_b32 exec_lo, exec_lo, s2
.LBB11_11:
	v_add_co_u32 v8, vcc_lo, v39, v43
	v_add_co_ci_u32_e32 v9, vcc_lo, 0, v40, vcc_lo
	v_perm_b32 v3, v23, v22, 0x7060302
	v_perm_b32 v2, v21, v20, 0x7060302
	;; [unrolled: 1-line block ×8, first 2 shown]
	s_clause 0x1
	global_store_b128 v[8:9], v[0:3], off
	global_store_b128 v[8:9], v[4:7], off offset:16
.LBB11_12:
	s_nop 0
	s_sendmsg sendmsg(MSG_DEALLOC_VGPRS)
	s_endpgm
.LBB11_13:
	s_load_b64 s[2:3], s[0:1], 0x30
	s_mov_b32 s4, 0
	s_mov_b32 s13, exec_lo
                                        ; implicit-def: $vgpr39_vgpr40
                                        ; implicit-def: $vgpr37_vgpr38
                                        ; implicit-def: $vgpr35_vgpr36
                                        ; implicit-def: $vgpr28_vgpr29
                                        ; implicit-def: $vgpr26_vgpr27
                                        ; implicit-def: $vgpr22_vgpr23
                                        ; implicit-def: $vgpr20_vgpr21
                                        ; implicit-def: $vgpr18_vgpr19
	s_waitcnt lgkmcnt(0)
	v_add_co_u32 v16, vcc_lo, s2, v41
	v_add_co_ci_u32_e32 v17, vcc_lo, s3, v42, vcc_lo
	global_load_b64 v[24:25], v[16:17], off
                                        ; implicit-def: $vgpr16_vgpr17
	s_waitcnt vmcnt(0)
	v_cmpx_lt_i64_e32 -1, v[24:25]
	s_cbranch_execz .LBB11_83
; %bb.14:
	s_ashr_i32 s14, s12, 31
	v_mov_b32_e32 v16, 0
	v_or_b32_e32 v17, s14, v25
                                        ; implicit-def: $vgpr30_vgpr31
	s_mov_b32 s2, exec_lo
	s_delay_alu instid0(VALU_DEP_1)
	v_cmpx_ne_u64_e32 0, v[16:17]
	s_xor_b32 s3, exec_lo, s2
	s_cbranch_execz .LBB11_16
; %bb.15:
	s_add_u32 s10, s12, s14
	s_mov_b32 s4, s14
	s_mov_b32 s5, s14
	s_addc_u32 s11, s14, s14
	s_delay_alu instid0(SALU_CYCLE_1) | instskip(NEXT) | instid1(SALU_CYCLE_1)
	s_xor_b64 s[10:11], s[10:11], s[4:5]
	v_cvt_f32_u32_e32 v16, s10
	v_cvt_f32_u32_e32 v17, s11
	s_sub_u32 s2, 0, s10
	s_subb_u32 s15, 0, s11
	s_delay_alu instid0(VALU_DEP_1) | instskip(NEXT) | instid1(VALU_DEP_1)
	v_fmamk_f32 v16, v17, 0x4f800000, v16
	v_rcp_f32_e32 v16, v16
	s_waitcnt_depctr 0xfff
	v_mul_f32_e32 v16, 0x5f7ffffc, v16
	s_delay_alu instid0(VALU_DEP_1) | instskip(NEXT) | instid1(VALU_DEP_1)
	v_mul_f32_e32 v17, 0x2f800000, v16
	v_trunc_f32_e32 v17, v17
	s_delay_alu instid0(VALU_DEP_1) | instskip(SKIP_1) | instid1(VALU_DEP_2)
	v_fmamk_f32 v16, v17, 0xcf800000, v16
	v_cvt_u32_f32_e32 v17, v17
	v_cvt_u32_f32_e32 v16, v16
	s_delay_alu instid0(VALU_DEP_2) | instskip(NEXT) | instid1(VALU_DEP_2)
	v_mul_lo_u32 v18, s2, v17
	v_mul_hi_u32 v19, s2, v16
	v_mul_lo_u32 v20, s15, v16
	s_delay_alu instid0(VALU_DEP_2) | instskip(SKIP_1) | instid1(VALU_DEP_2)
	v_add_nc_u32_e32 v18, v19, v18
	v_mul_lo_u32 v19, s2, v16
	v_add_nc_u32_e32 v18, v18, v20
	s_delay_alu instid0(VALU_DEP_2) | instskip(NEXT) | instid1(VALU_DEP_2)
	v_mul_hi_u32 v20, v16, v19
	v_mul_lo_u32 v21, v16, v18
	v_mul_hi_u32 v22, v16, v18
	v_mul_hi_u32 v23, v17, v19
	v_mul_lo_u32 v19, v17, v19
	v_mul_hi_u32 v26, v17, v18
	v_mul_lo_u32 v18, v17, v18
	v_add_co_u32 v20, vcc_lo, v20, v21
	v_add_co_ci_u32_e32 v21, vcc_lo, 0, v22, vcc_lo
	s_delay_alu instid0(VALU_DEP_2) | instskip(NEXT) | instid1(VALU_DEP_2)
	v_add_co_u32 v19, vcc_lo, v20, v19
	v_add_co_ci_u32_e32 v19, vcc_lo, v21, v23, vcc_lo
	v_add_co_ci_u32_e32 v20, vcc_lo, 0, v26, vcc_lo
	v_ashrrev_i32_e32 v23, 31, v25
	s_delay_alu instid0(VALU_DEP_3) | instskip(NEXT) | instid1(VALU_DEP_3)
	v_add_co_u32 v18, vcc_lo, v19, v18
	v_add_co_ci_u32_e32 v19, vcc_lo, 0, v20, vcc_lo
	s_delay_alu instid0(VALU_DEP_2) | instskip(NEXT) | instid1(VALU_DEP_2)
	v_add_co_u32 v16, vcc_lo, v16, v18
	v_add_co_ci_u32_e32 v17, vcc_lo, v17, v19, vcc_lo
	s_delay_alu instid0(VALU_DEP_2) | instskip(SKIP_1) | instid1(VALU_DEP_3)
	v_mul_hi_u32 v18, s2, v16
	v_mul_lo_u32 v20, s15, v16
	v_mul_lo_u32 v19, s2, v17
	s_delay_alu instid0(VALU_DEP_1) | instskip(SKIP_1) | instid1(VALU_DEP_2)
	v_add_nc_u32_e32 v18, v18, v19
	v_mul_lo_u32 v19, s2, v16
	v_add_nc_u32_e32 v18, v18, v20
	s_delay_alu instid0(VALU_DEP_2) | instskip(NEXT) | instid1(VALU_DEP_2)
	v_mul_hi_u32 v20, v16, v19
	v_mul_lo_u32 v21, v16, v18
	v_mul_hi_u32 v22, v16, v18
	v_mul_hi_u32 v26, v17, v19
	v_mul_lo_u32 v19, v17, v19
	v_mul_hi_u32 v27, v17, v18
	v_mul_lo_u32 v18, v17, v18
	v_add_co_u32 v20, vcc_lo, v20, v21
	v_add_co_ci_u32_e32 v21, vcc_lo, 0, v22, vcc_lo
	s_delay_alu instid0(VALU_DEP_2) | instskip(NEXT) | instid1(VALU_DEP_2)
	v_add_co_u32 v19, vcc_lo, v20, v19
	v_add_co_ci_u32_e32 v19, vcc_lo, v21, v26, vcc_lo
	v_add_co_ci_u32_e32 v20, vcc_lo, 0, v27, vcc_lo
	v_add_co_u32 v21, vcc_lo, v24, v23
	v_add_co_ci_u32_e32 v22, vcc_lo, v25, v23, vcc_lo
	s_delay_alu instid0(VALU_DEP_4) | instskip(NEXT) | instid1(VALU_DEP_4)
	v_add_co_u32 v18, vcc_lo, v19, v18
	v_add_co_ci_u32_e32 v19, vcc_lo, 0, v20, vcc_lo
	s_delay_alu instid0(VALU_DEP_4) | instskip(NEXT) | instid1(VALU_DEP_3)
	v_xor_b32_e32 v26, v21, v23
	v_add_co_u32 v20, vcc_lo, v16, v18
	s_delay_alu instid0(VALU_DEP_3) | instskip(SKIP_1) | instid1(VALU_DEP_3)
	v_add_co_ci_u32_e32 v27, vcc_lo, v17, v19, vcc_lo
	v_xor_b32_e32 v22, v22, v23
	v_mul_hi_u32 v28, v26, v20
	s_delay_alu instid0(VALU_DEP_3) | instskip(NEXT) | instid1(VALU_DEP_3)
	v_mad_u64_u32 v[16:17], null, v26, v27, 0
	v_mad_u64_u32 v[18:19], null, v22, v20, 0
	;; [unrolled: 1-line block ×3, first 2 shown]
	s_delay_alu instid0(VALU_DEP_3) | instskip(NEXT) | instid1(VALU_DEP_4)
	v_add_co_u32 v16, vcc_lo, v28, v16
	v_add_co_ci_u32_e32 v17, vcc_lo, 0, v17, vcc_lo
	s_delay_alu instid0(VALU_DEP_2) | instskip(NEXT) | instid1(VALU_DEP_2)
	v_add_co_u32 v16, vcc_lo, v16, v18
	v_add_co_ci_u32_e32 v16, vcc_lo, v17, v19, vcc_lo
	v_add_co_ci_u32_e32 v17, vcc_lo, 0, v21, vcc_lo
	s_delay_alu instid0(VALU_DEP_2) | instskip(NEXT) | instid1(VALU_DEP_2)
	v_add_co_u32 v18, vcc_lo, v16, v20
	v_add_co_ci_u32_e32 v19, vcc_lo, 0, v17, vcc_lo
	s_delay_alu instid0(VALU_DEP_2) | instskip(SKIP_1) | instid1(VALU_DEP_3)
	v_mul_lo_u32 v20, s11, v18
	v_mad_u64_u32 v[16:17], null, s10, v18, 0
	v_mul_lo_u32 v21, s10, v19
	s_delay_alu instid0(VALU_DEP_2) | instskip(NEXT) | instid1(VALU_DEP_2)
	v_sub_co_u32 v16, vcc_lo, v26, v16
	v_add3_u32 v17, v17, v21, v20
	s_delay_alu instid0(VALU_DEP_1) | instskip(NEXT) | instid1(VALU_DEP_1)
	v_sub_nc_u32_e32 v20, v22, v17
	v_subrev_co_ci_u32_e64 v20, s2, s11, v20, vcc_lo
	v_add_co_u32 v21, s2, v18, 2
	s_delay_alu instid0(VALU_DEP_1) | instskip(SKIP_3) | instid1(VALU_DEP_3)
	v_add_co_ci_u32_e64 v26, s2, 0, v19, s2
	v_sub_co_u32 v27, s2, v16, s10
	v_sub_co_ci_u32_e32 v17, vcc_lo, v22, v17, vcc_lo
	v_subrev_co_ci_u32_e64 v20, s2, 0, v20, s2
	v_cmp_le_u32_e32 vcc_lo, s10, v27
	s_delay_alu instid0(VALU_DEP_3) | instskip(SKIP_1) | instid1(VALU_DEP_4)
	v_cmp_eq_u32_e64 s2, s11, v17
	v_cndmask_b32_e64 v22, 0, -1, vcc_lo
	v_cmp_le_u32_e32 vcc_lo, s11, v20
	v_cndmask_b32_e64 v27, 0, -1, vcc_lo
	v_cmp_le_u32_e32 vcc_lo, s10, v16
	;; [unrolled: 2-line block ×3, first 2 shown]
	v_cndmask_b32_e64 v28, 0, -1, vcc_lo
	v_cmp_eq_u32_e32 vcc_lo, s11, v20
	s_delay_alu instid0(VALU_DEP_2) | instskip(SKIP_3) | instid1(VALU_DEP_3)
	v_cndmask_b32_e64 v16, v28, v16, s2
	v_cndmask_b32_e32 v20, v27, v22, vcc_lo
	v_add_co_u32 v22, vcc_lo, v18, 1
	v_add_co_ci_u32_e32 v27, vcc_lo, 0, v19, vcc_lo
	v_cmp_ne_u32_e32 vcc_lo, 0, v20
	s_delay_alu instid0(VALU_DEP_2) | instskip(SKIP_2) | instid1(VALU_DEP_3)
	v_dual_cndmask_b32 v17, v27, v26 :: v_dual_cndmask_b32 v20, v22, v21
	v_cmp_ne_u32_e32 vcc_lo, 0, v16
	v_xor_b32_e32 v16, s4, v23
	v_dual_cndmask_b32 v18, v18, v20 :: v_dual_cndmask_b32 v17, v19, v17
	v_xor_b32_e32 v19, s5, v23
	s_delay_alu instid0(VALU_DEP_2) | instskip(NEXT) | instid1(VALU_DEP_2)
	v_xor_b32_e32 v18, v18, v16
	v_xor_b32_e32 v17, v17, v19
	s_delay_alu instid0(VALU_DEP_2) | instskip(NEXT) | instid1(VALU_DEP_2)
	v_sub_co_u32 v30, vcc_lo, v18, v16
	v_sub_co_ci_u32_e32 v31, vcc_lo, v17, v19, vcc_lo
.LBB11_16:
	s_and_not1_saveexec_b32 s2, s3
	s_cbranch_execz .LBB11_18
; %bb.17:
	v_cvt_f32_u32_e32 v16, s12
	s_sub_i32 s3, 0, s12
	v_mov_b32_e32 v31, 0
	s_delay_alu instid0(VALU_DEP_2) | instskip(SKIP_2) | instid1(VALU_DEP_1)
	v_rcp_iflag_f32_e32 v16, v16
	s_waitcnt_depctr 0xfff
	v_mul_f32_e32 v16, 0x4f7ffffe, v16
	v_cvt_u32_f32_e32 v16, v16
	s_delay_alu instid0(VALU_DEP_1) | instskip(NEXT) | instid1(VALU_DEP_1)
	v_mul_lo_u32 v17, s3, v16
	v_mul_hi_u32 v17, v16, v17
	s_delay_alu instid0(VALU_DEP_1) | instskip(NEXT) | instid1(VALU_DEP_1)
	v_add_nc_u32_e32 v16, v16, v17
	v_mul_hi_u32 v16, v24, v16
	s_delay_alu instid0(VALU_DEP_1) | instskip(SKIP_1) | instid1(VALU_DEP_2)
	v_mul_lo_u32 v17, v16, s12
	v_add_nc_u32_e32 v18, 1, v16
	v_sub_nc_u32_e32 v17, v24, v17
	s_delay_alu instid0(VALU_DEP_1) | instskip(SKIP_1) | instid1(VALU_DEP_2)
	v_subrev_nc_u32_e32 v19, s12, v17
	v_cmp_le_u32_e32 vcc_lo, s12, v17
	v_dual_cndmask_b32 v17, v17, v19 :: v_dual_cndmask_b32 v16, v16, v18
	s_delay_alu instid0(VALU_DEP_1) | instskip(NEXT) | instid1(VALU_DEP_2)
	v_cmp_le_u32_e32 vcc_lo, s12, v17
	v_add_nc_u32_e32 v18, 1, v16
	s_delay_alu instid0(VALU_DEP_1)
	v_cndmask_b32_e32 v30, v16, v18, vcc_lo
.LBB11_18:
	s_or_b32 exec_lo, exec_lo, s2
	v_and_b32_e32 v16, 0x7f800000, v0
	s_delay_alu instid0(VALU_DEP_1) | instskip(SKIP_1) | instid1(SALU_CYCLE_1)
	v_cmp_ne_u32_e32 vcc_lo, 0x7f800000, v16
                                        ; implicit-def: $vgpr16
	s_and_saveexec_b32 s2, vcc_lo
	s_xor_b32 s2, exec_lo, s2
; %bb.19:
	v_bfe_u32 v16, v0, 16, 1
	s_delay_alu instid0(VALU_DEP_1)
	v_add3_u32 v16, v0, v16, 0x7fff
; %bb.20:
	s_and_not1_saveexec_b32 s2, s2
; %bb.21:
	v_and_b32_e32 v16, 0xffff, v0
	v_or_b32_e32 v17, 0x10000, v0
	s_delay_alu instid0(VALU_DEP_2) | instskip(NEXT) | instid1(VALU_DEP_2)
	v_cmp_eq_u32_e32 vcc_lo, 0, v16
	v_cndmask_b32_e32 v16, v17, v0, vcc_lo
; %bb.22:
	s_or_b32 exec_lo, exec_lo, s2
	v_and_b32_e32 v0, 0x7f800000, v1
	s_mov_b32 s2, exec_lo
	s_delay_alu instid0(VALU_DEP_1)
	v_cmpx_ne_u32_e32 0x7f800000, v0
	s_xor_b32 s2, exec_lo, s2
; %bb.23:
	v_bfe_u32 v0, v1, 16, 1
	s_delay_alu instid0(VALU_DEP_1)
	v_add3_u32 v17, v1, v0, 0x7fff
; %bb.24:
	s_and_not1_saveexec_b32 s2, s2
; %bb.25:
	v_and_b32_e32 v0, 0xffff, v1
	v_or_b32_e32 v17, 0x10000, v1
	s_delay_alu instid0(VALU_DEP_2) | instskip(NEXT) | instid1(VALU_DEP_2)
	v_cmp_eq_u32_e32 vcc_lo, 0, v0
	v_cndmask_b32_e32 v17, v17, v1, vcc_lo
; %bb.26:
	s_or_b32 exec_lo, exec_lo, s2
	v_and_b32_e32 v0, 0x7f800000, v2
	s_mov_b32 s2, exec_lo
                                        ; implicit-def: $vgpr18
	s_delay_alu instid0(VALU_DEP_1)
	v_cmpx_ne_u32_e32 0x7f800000, v0
	s_xor_b32 s2, exec_lo, s2
; %bb.27:
	v_bfe_u32 v0, v2, 16, 1
	s_delay_alu instid0(VALU_DEP_1)
	v_add3_u32 v18, v2, v0, 0x7fff
; %bb.28:
	s_and_not1_saveexec_b32 s2, s2
; %bb.29:
	v_and_b32_e32 v0, 0xffff, v2
	v_or_b32_e32 v1, 0x10000, v2
	s_delay_alu instid0(VALU_DEP_2) | instskip(NEXT) | instid1(VALU_DEP_2)
	v_cmp_eq_u32_e32 vcc_lo, 0, v0
	v_cndmask_b32_e32 v18, v1, v2, vcc_lo
; %bb.30:
	s_or_b32 exec_lo, exec_lo, s2
	v_and_b32_e32 v0, 0x7f800000, v3
	s_mov_b32 s2, exec_lo
	s_delay_alu instid0(VALU_DEP_1)
	v_cmpx_ne_u32_e32 0x7f800000, v0
	s_xor_b32 s2, exec_lo, s2
; %bb.31:
	v_bfe_u32 v0, v3, 16, 1
	s_delay_alu instid0(VALU_DEP_1)
	v_add3_u32 v19, v3, v0, 0x7fff
; %bb.32:
	s_and_not1_saveexec_b32 s2, s2
; %bb.33:
	v_and_b32_e32 v0, 0xffff, v3
	v_or_b32_e32 v1, 0x10000, v3
	s_delay_alu instid0(VALU_DEP_2) | instskip(NEXT) | instid1(VALU_DEP_2)
	v_cmp_eq_u32_e32 vcc_lo, 0, v0
	v_cndmask_b32_e32 v19, v1, v3, vcc_lo
; %bb.34:
	s_or_b32 exec_lo, exec_lo, s2
	v_and_b32_e32 v0, 0x7f800000, v4
	s_mov_b32 s2, exec_lo
                                        ; implicit-def: $vgpr20
	s_delay_alu instid0(VALU_DEP_1)
	v_cmpx_ne_u32_e32 0x7f800000, v0
	s_xor_b32 s2, exec_lo, s2
; %bb.35:
	v_bfe_u32 v0, v4, 16, 1
	s_delay_alu instid0(VALU_DEP_1)
	v_add3_u32 v20, v4, v0, 0x7fff
; %bb.36:
	s_and_not1_saveexec_b32 s2, s2
; %bb.37:
	v_and_b32_e32 v0, 0xffff, v4
	v_or_b32_e32 v1, 0x10000, v4
	s_delay_alu instid0(VALU_DEP_2) | instskip(NEXT) | instid1(VALU_DEP_2)
	v_cmp_eq_u32_e32 vcc_lo, 0, v0
	v_cndmask_b32_e32 v20, v1, v4, vcc_lo
; %bb.38:
	s_or_b32 exec_lo, exec_lo, s2
	v_and_b32_e32 v0, 0x7f800000, v5
	s_mov_b32 s2, exec_lo
	s_delay_alu instid0(VALU_DEP_1)
	v_cmpx_ne_u32_e32 0x7f800000, v0
	s_xor_b32 s2, exec_lo, s2
; %bb.39:
	v_bfe_u32 v0, v5, 16, 1
	s_delay_alu instid0(VALU_DEP_1)
	v_add3_u32 v21, v5, v0, 0x7fff
; %bb.40:
	s_and_not1_saveexec_b32 s2, s2
; %bb.41:
	v_and_b32_e32 v0, 0xffff, v5
	v_or_b32_e32 v1, 0x10000, v5
	s_delay_alu instid0(VALU_DEP_2) | instskip(NEXT) | instid1(VALU_DEP_2)
	v_cmp_eq_u32_e32 vcc_lo, 0, v0
	v_cndmask_b32_e32 v21, v1, v5, vcc_lo
; %bb.42:
	s_or_b32 exec_lo, exec_lo, s2
	v_and_b32_e32 v0, 0x7f800000, v6
	s_mov_b32 s2, exec_lo
                                        ; implicit-def: $vgpr22
	s_delay_alu instid0(VALU_DEP_1)
	v_cmpx_ne_u32_e32 0x7f800000, v0
	s_xor_b32 s2, exec_lo, s2
; %bb.43:
	v_bfe_u32 v0, v6, 16, 1
	s_delay_alu instid0(VALU_DEP_1)
	v_add3_u32 v22, v6, v0, 0x7fff
; %bb.44:
	s_and_not1_saveexec_b32 s2, s2
; %bb.45:
	v_and_b32_e32 v0, 0xffff, v6
	v_or_b32_e32 v1, 0x10000, v6
	s_delay_alu instid0(VALU_DEP_2) | instskip(NEXT) | instid1(VALU_DEP_2)
	v_cmp_eq_u32_e32 vcc_lo, 0, v0
	v_cndmask_b32_e32 v22, v1, v6, vcc_lo
; %bb.46:
	s_or_b32 exec_lo, exec_lo, s2
	v_and_b32_e32 v0, 0x7f800000, v7
	s_mov_b32 s2, exec_lo
	s_delay_alu instid0(VALU_DEP_1)
	v_cmpx_ne_u32_e32 0x7f800000, v0
	s_xor_b32 s2, exec_lo, s2
; %bb.47:
	v_bfe_u32 v0, v7, 16, 1
	s_delay_alu instid0(VALU_DEP_1)
	v_add3_u32 v23, v7, v0, 0x7fff
; %bb.48:
	s_and_not1_saveexec_b32 s2, s2
; %bb.49:
	v_and_b32_e32 v0, 0xffff, v7
	v_or_b32_e32 v1, 0x10000, v7
	s_delay_alu instid0(VALU_DEP_2) | instskip(NEXT) | instid1(VALU_DEP_2)
	v_cmp_eq_u32_e32 vcc_lo, 0, v0
	v_cndmask_b32_e32 v23, v1, v7, vcc_lo
; %bb.50:
	s_or_b32 exec_lo, exec_lo, s2
	v_and_b32_e32 v0, 0x7f800000, v8
	s_mov_b32 s2, exec_lo
                                        ; implicit-def: $vgpr26
	s_delay_alu instid0(VALU_DEP_1)
	v_cmpx_ne_u32_e32 0x7f800000, v0
	s_xor_b32 s2, exec_lo, s2
; %bb.51:
	v_bfe_u32 v0, v8, 16, 1
	s_delay_alu instid0(VALU_DEP_1)
	v_add3_u32 v26, v8, v0, 0x7fff
; %bb.52:
	s_and_not1_saveexec_b32 s2, s2
; %bb.53:
	v_and_b32_e32 v0, 0xffff, v8
	v_or_b32_e32 v1, 0x10000, v8
	s_delay_alu instid0(VALU_DEP_2) | instskip(NEXT) | instid1(VALU_DEP_2)
	v_cmp_eq_u32_e32 vcc_lo, 0, v0
	v_cndmask_b32_e32 v26, v1, v8, vcc_lo
; %bb.54:
	s_or_b32 exec_lo, exec_lo, s2
	v_and_b32_e32 v0, 0x7f800000, v9
	s_mov_b32 s2, exec_lo
	s_delay_alu instid0(VALU_DEP_1)
	v_cmpx_ne_u32_e32 0x7f800000, v0
	s_xor_b32 s2, exec_lo, s2
; %bb.55:
	v_bfe_u32 v0, v9, 16, 1
	s_delay_alu instid0(VALU_DEP_1)
	v_add3_u32 v27, v9, v0, 0x7fff
; %bb.56:
	s_and_not1_saveexec_b32 s2, s2
; %bb.57:
	v_and_b32_e32 v0, 0xffff, v9
	v_or_b32_e32 v1, 0x10000, v9
	s_delay_alu instid0(VALU_DEP_2) | instskip(NEXT) | instid1(VALU_DEP_2)
	v_cmp_eq_u32_e32 vcc_lo, 0, v0
	v_cndmask_b32_e32 v27, v1, v9, vcc_lo
; %bb.58:
	s_or_b32 exec_lo, exec_lo, s2
	v_and_b32_e32 v0, 0x7f800000, v10
	s_mov_b32 s2, exec_lo
                                        ; implicit-def: $vgpr28
	s_delay_alu instid0(VALU_DEP_1)
	v_cmpx_ne_u32_e32 0x7f800000, v0
	s_xor_b32 s2, exec_lo, s2
; %bb.59:
	v_bfe_u32 v0, v10, 16, 1
	s_delay_alu instid0(VALU_DEP_1)
	v_add3_u32 v28, v10, v0, 0x7fff
; %bb.60:
	s_and_not1_saveexec_b32 s2, s2
; %bb.61:
	v_and_b32_e32 v0, 0xffff, v10
	v_or_b32_e32 v1, 0x10000, v10
	s_delay_alu instid0(VALU_DEP_2) | instskip(NEXT) | instid1(VALU_DEP_2)
	v_cmp_eq_u32_e32 vcc_lo, 0, v0
	v_cndmask_b32_e32 v28, v1, v10, vcc_lo
; %bb.62:
	s_or_b32 exec_lo, exec_lo, s2
	v_and_b32_e32 v0, 0x7f800000, v11
	s_mov_b32 s2, exec_lo
	s_delay_alu instid0(VALU_DEP_1)
	v_cmpx_ne_u32_e32 0x7f800000, v0
	s_xor_b32 s2, exec_lo, s2
; %bb.63:
	v_bfe_u32 v0, v11, 16, 1
	s_delay_alu instid0(VALU_DEP_1)
	v_add3_u32 v29, v11, v0, 0x7fff
; %bb.64:
	s_and_not1_saveexec_b32 s2, s2
; %bb.65:
	v_and_b32_e32 v0, 0xffff, v11
	v_or_b32_e32 v1, 0x10000, v11
	s_delay_alu instid0(VALU_DEP_2) | instskip(NEXT) | instid1(VALU_DEP_2)
	v_cmp_eq_u32_e32 vcc_lo, 0, v0
	v_cndmask_b32_e32 v29, v1, v11, vcc_lo
; %bb.66:
	s_or_b32 exec_lo, exec_lo, s2
	v_and_b32_e32 v0, 0x7f800000, v12
	s_mov_b32 s2, exec_lo
                                        ; implicit-def: $vgpr35
	s_delay_alu instid0(VALU_DEP_1)
	v_cmpx_ne_u32_e32 0x7f800000, v0
	s_xor_b32 s2, exec_lo, s2
; %bb.67:
	v_bfe_u32 v0, v12, 16, 1
	s_delay_alu instid0(VALU_DEP_1)
	v_add3_u32 v35, v12, v0, 0x7fff
; %bb.68:
	s_and_not1_saveexec_b32 s2, s2
; %bb.69:
	v_and_b32_e32 v0, 0xffff, v12
	v_or_b32_e32 v1, 0x10000, v12
	s_delay_alu instid0(VALU_DEP_2) | instskip(NEXT) | instid1(VALU_DEP_2)
	v_cmp_eq_u32_e32 vcc_lo, 0, v0
	v_cndmask_b32_e32 v35, v1, v12, vcc_lo
; %bb.70:
	s_or_b32 exec_lo, exec_lo, s2
	v_and_b32_e32 v0, 0x7f800000, v13
	s_mov_b32 s2, exec_lo
	s_delay_alu instid0(VALU_DEP_1)
	v_cmpx_ne_u32_e32 0x7f800000, v0
	s_xor_b32 s2, exec_lo, s2
; %bb.71:
	v_bfe_u32 v0, v13, 16, 1
	s_delay_alu instid0(VALU_DEP_1)
	v_add3_u32 v36, v13, v0, 0x7fff
; %bb.72:
	s_and_not1_saveexec_b32 s2, s2
; %bb.73:
	v_and_b32_e32 v0, 0xffff, v13
	v_or_b32_e32 v1, 0x10000, v13
	s_delay_alu instid0(VALU_DEP_2) | instskip(NEXT) | instid1(VALU_DEP_2)
	v_cmp_eq_u32_e32 vcc_lo, 0, v0
	v_cndmask_b32_e32 v36, v1, v13, vcc_lo
; %bb.74:
	s_or_b32 exec_lo, exec_lo, s2
	v_and_b32_e32 v0, 0x7f800000, v14
	s_mov_b32 s2, exec_lo
                                        ; implicit-def: $vgpr37
	s_delay_alu instid0(VALU_DEP_1)
	v_cmpx_ne_u32_e32 0x7f800000, v0
	s_xor_b32 s2, exec_lo, s2
; %bb.75:
	v_bfe_u32 v0, v14, 16, 1
	s_delay_alu instid0(VALU_DEP_1)
	v_add3_u32 v37, v14, v0, 0x7fff
; %bb.76:
	s_and_not1_saveexec_b32 s2, s2
; %bb.77:
	v_and_b32_e32 v0, 0xffff, v14
	v_or_b32_e32 v1, 0x10000, v14
	s_delay_alu instid0(VALU_DEP_2) | instskip(NEXT) | instid1(VALU_DEP_2)
	v_cmp_eq_u32_e32 vcc_lo, 0, v0
	v_cndmask_b32_e32 v37, v1, v14, vcc_lo
; %bb.78:
	s_or_b32 exec_lo, exec_lo, s2
	v_and_b32_e32 v0, 0x7f800000, v15
	s_mov_b32 s2, exec_lo
	s_delay_alu instid0(VALU_DEP_1)
	v_cmpx_ne_u32_e32 0x7f800000, v0
	s_xor_b32 s2, exec_lo, s2
; %bb.79:
	v_bfe_u32 v0, v15, 16, 1
	s_delay_alu instid0(VALU_DEP_1)
	v_add3_u32 v38, v15, v0, 0x7fff
                                        ; implicit-def: $vgpr0_vgpr1_vgpr2_vgpr3_vgpr4_vgpr5_vgpr6_vgpr7_vgpr8_vgpr9_vgpr10_vgpr11_vgpr12_vgpr13_vgpr14_vgpr15
; %bb.80:
	s_or_saveexec_b32 s4, s2
	s_load_b64 s[2:3], s[0:1], 0x28
	s_xor_b32 exec_lo, exec_lo, s4
; %bb.81:
	v_and_b32_e32 v0, 0xffff, v15
	v_or_b32_e32 v1, 0x10000, v15
	s_delay_alu instid0(VALU_DEP_2) | instskip(NEXT) | instid1(VALU_DEP_2)
	v_cmp_eq_u32_e32 vcc_lo, 0, v0
	v_cndmask_b32_e32 v38, v1, v15, vcc_lo
; %bb.82:
	s_or_b32 exec_lo, exec_lo, s4
	s_load_b128 s[16:19], s[0:1], 0x70
	v_mul_lo_u32 v4, v31, s12
	v_mul_lo_u32 v5, v30, s14
	v_mad_u64_u32 v[0:1], null, v30, s12, 0
	s_mov_b32 s4, exec_lo
	s_delay_alu instid0(VALU_DEP_1) | instskip(NEXT) | instid1(VALU_DEP_2)
	v_add3_u32 v1, v1, v5, v4
	v_sub_co_u32 v0, vcc_lo, v24, v0
	s_delay_alu instid0(VALU_DEP_2)
	v_sub_co_ci_u32_e32 v1, vcc_lo, v25, v1, vcc_lo
	s_waitcnt lgkmcnt(0)
	v_mad_u64_u32 v[2:3], null, v30, s16, s[2:3]
	v_mul_lo_u32 v6, v30, s17
	v_mul_lo_u32 v7, v31, s16
	;; [unrolled: 1-line block ×3, first 2 shown]
	s_delay_alu instid0(VALU_DEP_2) | instskip(NEXT) | instid1(VALU_DEP_1)
	v_add3_u32 v3, v7, v3, v6
	v_mad_u64_u32 v[39:40], null, v0, s18, v[2:3]
	v_mul_lo_u32 v0, v1, s18
	s_delay_alu instid0(VALU_DEP_1)
	v_add3_u32 v40, v0, v40, v4
.LBB11_83:
	s_or_b32 exec_lo, exec_lo, s13
	s_delay_alu instid0(SALU_CYCLE_1)
	s_and_b32 s2, s4, exec_lo
                                        ; implicit-def: $vgpr33
                                        ; implicit-def: $vgpr31_vgpr32
                                        ; implicit-def: $vgpr0_vgpr1_vgpr2_vgpr3_vgpr4_vgpr5_vgpr6_vgpr7_vgpr8_vgpr9_vgpr10_vgpr11_vgpr12_vgpr13_vgpr14_vgpr15
	s_and_not1_saveexec_b32 s0, s6
	s_cbranch_execz .LBB11_10
.LBB11_84:
	v_and_b32_e32 v16, 0x7f800000, v0
	s_delay_alu instid0(VALU_DEP_1) | instskip(SKIP_1) | instid1(SALU_CYCLE_1)
	v_cmp_ne_u32_e32 vcc_lo, 0x7f800000, v16
                                        ; implicit-def: $vgpr16
	s_and_saveexec_b32 s1, vcc_lo
	s_xor_b32 s1, exec_lo, s1
; %bb.85:
	v_bfe_u32 v16, v0, 16, 1
	s_delay_alu instid0(VALU_DEP_1)
	v_add3_u32 v16, v0, v16, 0x7fff
; %bb.86:
	s_and_not1_saveexec_b32 s1, s1
; %bb.87:
	v_and_b32_e32 v16, 0xffff, v0
	v_or_b32_e32 v17, 0x10000, v0
	s_delay_alu instid0(VALU_DEP_2) | instskip(NEXT) | instid1(VALU_DEP_2)
	v_cmp_eq_u32_e32 vcc_lo, 0, v16
	v_cndmask_b32_e32 v16, v17, v0, vcc_lo
; %bb.88:
	s_or_b32 exec_lo, exec_lo, s1
	v_and_b32_e32 v0, 0x7f800000, v1
	s_mov_b32 s1, exec_lo
	s_delay_alu instid0(VALU_DEP_1)
	v_cmpx_ne_u32_e32 0x7f800000, v0
	s_xor_b32 s1, exec_lo, s1
; %bb.89:
	v_bfe_u32 v0, v1, 16, 1
	s_delay_alu instid0(VALU_DEP_1)
	v_add3_u32 v17, v1, v0, 0x7fff
; %bb.90:
	s_and_not1_saveexec_b32 s1, s1
; %bb.91:
	v_and_b32_e32 v0, 0xffff, v1
	v_or_b32_e32 v17, 0x10000, v1
	s_delay_alu instid0(VALU_DEP_2) | instskip(NEXT) | instid1(VALU_DEP_2)
	v_cmp_eq_u32_e32 vcc_lo, 0, v0
	v_cndmask_b32_e32 v17, v17, v1, vcc_lo
; %bb.92:
	s_or_b32 exec_lo, exec_lo, s1
	v_and_b32_e32 v0, 0x7f800000, v2
	s_mov_b32 s1, exec_lo
                                        ; implicit-def: $vgpr18
	s_delay_alu instid0(VALU_DEP_1)
	v_cmpx_ne_u32_e32 0x7f800000, v0
	s_xor_b32 s1, exec_lo, s1
; %bb.93:
	v_bfe_u32 v0, v2, 16, 1
	s_delay_alu instid0(VALU_DEP_1)
	v_add3_u32 v18, v2, v0, 0x7fff
; %bb.94:
	s_and_not1_saveexec_b32 s1, s1
; %bb.95:
	v_and_b32_e32 v0, 0xffff, v2
	v_or_b32_e32 v1, 0x10000, v2
	s_delay_alu instid0(VALU_DEP_2) | instskip(NEXT) | instid1(VALU_DEP_2)
	v_cmp_eq_u32_e32 vcc_lo, 0, v0
	v_cndmask_b32_e32 v18, v1, v2, vcc_lo
; %bb.96:
	s_or_b32 exec_lo, exec_lo, s1
	v_and_b32_e32 v0, 0x7f800000, v3
	s_mov_b32 s1, exec_lo
	s_delay_alu instid0(VALU_DEP_1)
	v_cmpx_ne_u32_e32 0x7f800000, v0
	s_xor_b32 s1, exec_lo, s1
; %bb.97:
	v_bfe_u32 v0, v3, 16, 1
	s_delay_alu instid0(VALU_DEP_1)
	v_add3_u32 v19, v3, v0, 0x7fff
; %bb.98:
	s_and_not1_saveexec_b32 s1, s1
; %bb.99:
	v_and_b32_e32 v0, 0xffff, v3
	v_or_b32_e32 v1, 0x10000, v3
	s_delay_alu instid0(VALU_DEP_2) | instskip(NEXT) | instid1(VALU_DEP_2)
	v_cmp_eq_u32_e32 vcc_lo, 0, v0
	v_cndmask_b32_e32 v19, v1, v3, vcc_lo
; %bb.100:
	s_or_b32 exec_lo, exec_lo, s1
	v_and_b32_e32 v0, 0x7f800000, v4
	s_mov_b32 s1, exec_lo
                                        ; implicit-def: $vgpr20
	s_delay_alu instid0(VALU_DEP_1)
	v_cmpx_ne_u32_e32 0x7f800000, v0
	s_xor_b32 s1, exec_lo, s1
; %bb.101:
	v_bfe_u32 v0, v4, 16, 1
	s_delay_alu instid0(VALU_DEP_1)
	v_add3_u32 v20, v4, v0, 0x7fff
; %bb.102:
	s_and_not1_saveexec_b32 s1, s1
; %bb.103:
	v_and_b32_e32 v0, 0xffff, v4
	v_or_b32_e32 v1, 0x10000, v4
	s_delay_alu instid0(VALU_DEP_2) | instskip(NEXT) | instid1(VALU_DEP_2)
	v_cmp_eq_u32_e32 vcc_lo, 0, v0
	v_cndmask_b32_e32 v20, v1, v4, vcc_lo
; %bb.104:
	s_or_b32 exec_lo, exec_lo, s1
	v_and_b32_e32 v0, 0x7f800000, v5
	s_mov_b32 s1, exec_lo
	s_delay_alu instid0(VALU_DEP_1)
	v_cmpx_ne_u32_e32 0x7f800000, v0
	s_xor_b32 s1, exec_lo, s1
; %bb.105:
	v_bfe_u32 v0, v5, 16, 1
	s_delay_alu instid0(VALU_DEP_1)
	v_add3_u32 v21, v5, v0, 0x7fff
; %bb.106:
	s_and_not1_saveexec_b32 s1, s1
; %bb.107:
	v_and_b32_e32 v0, 0xffff, v5
	v_or_b32_e32 v1, 0x10000, v5
	s_delay_alu instid0(VALU_DEP_2) | instskip(NEXT) | instid1(VALU_DEP_2)
	v_cmp_eq_u32_e32 vcc_lo, 0, v0
	v_cndmask_b32_e32 v21, v1, v5, vcc_lo
; %bb.108:
	s_or_b32 exec_lo, exec_lo, s1
	v_and_b32_e32 v0, 0x7f800000, v6
	s_mov_b32 s1, exec_lo
                                        ; implicit-def: $vgpr22
	s_delay_alu instid0(VALU_DEP_1)
	v_cmpx_ne_u32_e32 0x7f800000, v0
	s_xor_b32 s1, exec_lo, s1
; %bb.109:
	v_bfe_u32 v0, v6, 16, 1
	s_delay_alu instid0(VALU_DEP_1)
	v_add3_u32 v22, v6, v0, 0x7fff
; %bb.110:
	s_and_not1_saveexec_b32 s1, s1
; %bb.111:
	v_and_b32_e32 v0, 0xffff, v6
	v_or_b32_e32 v1, 0x10000, v6
	s_delay_alu instid0(VALU_DEP_2) | instskip(NEXT) | instid1(VALU_DEP_2)
	v_cmp_eq_u32_e32 vcc_lo, 0, v0
	v_cndmask_b32_e32 v22, v1, v6, vcc_lo
; %bb.112:
	s_or_b32 exec_lo, exec_lo, s1
	v_and_b32_e32 v0, 0x7f800000, v7
	s_mov_b32 s1, exec_lo
	s_delay_alu instid0(VALU_DEP_1)
	v_cmpx_ne_u32_e32 0x7f800000, v0
	s_xor_b32 s1, exec_lo, s1
; %bb.113:
	v_bfe_u32 v0, v7, 16, 1
	s_delay_alu instid0(VALU_DEP_1)
	v_add3_u32 v23, v7, v0, 0x7fff
; %bb.114:
	s_and_not1_saveexec_b32 s1, s1
; %bb.115:
	v_and_b32_e32 v0, 0xffff, v7
	v_or_b32_e32 v1, 0x10000, v7
	s_delay_alu instid0(VALU_DEP_2) | instskip(NEXT) | instid1(VALU_DEP_2)
	v_cmp_eq_u32_e32 vcc_lo, 0, v0
	v_cndmask_b32_e32 v23, v1, v7, vcc_lo
; %bb.116:
	s_or_b32 exec_lo, exec_lo, s1
	v_and_b32_e32 v0, 0x7f800000, v8
	s_mov_b32 s1, exec_lo
                                        ; implicit-def: $vgpr26
	s_delay_alu instid0(VALU_DEP_1)
	v_cmpx_ne_u32_e32 0x7f800000, v0
	s_xor_b32 s1, exec_lo, s1
; %bb.117:
	v_bfe_u32 v0, v8, 16, 1
	s_delay_alu instid0(VALU_DEP_1)
	v_add3_u32 v26, v8, v0, 0x7fff
; %bb.118:
	s_and_not1_saveexec_b32 s1, s1
; %bb.119:
	v_and_b32_e32 v0, 0xffff, v8
	v_or_b32_e32 v1, 0x10000, v8
	s_delay_alu instid0(VALU_DEP_2) | instskip(NEXT) | instid1(VALU_DEP_2)
	v_cmp_eq_u32_e32 vcc_lo, 0, v0
	v_cndmask_b32_e32 v26, v1, v8, vcc_lo
; %bb.120:
	s_or_b32 exec_lo, exec_lo, s1
	v_and_b32_e32 v0, 0x7f800000, v9
	s_mov_b32 s1, exec_lo
	s_delay_alu instid0(VALU_DEP_1)
	v_cmpx_ne_u32_e32 0x7f800000, v0
	s_xor_b32 s1, exec_lo, s1
; %bb.121:
	v_bfe_u32 v0, v9, 16, 1
	s_delay_alu instid0(VALU_DEP_1)
	v_add3_u32 v27, v9, v0, 0x7fff
; %bb.122:
	s_and_not1_saveexec_b32 s1, s1
; %bb.123:
	v_and_b32_e32 v0, 0xffff, v9
	v_or_b32_e32 v1, 0x10000, v9
	s_delay_alu instid0(VALU_DEP_2) | instskip(NEXT) | instid1(VALU_DEP_2)
	v_cmp_eq_u32_e32 vcc_lo, 0, v0
	v_cndmask_b32_e32 v27, v1, v9, vcc_lo
; %bb.124:
	s_or_b32 exec_lo, exec_lo, s1
	v_and_b32_e32 v0, 0x7f800000, v10
	s_mov_b32 s1, exec_lo
                                        ; implicit-def: $vgpr28
	s_delay_alu instid0(VALU_DEP_1)
	v_cmpx_ne_u32_e32 0x7f800000, v0
	s_xor_b32 s1, exec_lo, s1
; %bb.125:
	v_bfe_u32 v0, v10, 16, 1
	s_delay_alu instid0(VALU_DEP_1)
	v_add3_u32 v28, v10, v0, 0x7fff
; %bb.126:
	s_and_not1_saveexec_b32 s1, s1
; %bb.127:
	v_and_b32_e32 v0, 0xffff, v10
	v_or_b32_e32 v1, 0x10000, v10
	s_delay_alu instid0(VALU_DEP_2) | instskip(NEXT) | instid1(VALU_DEP_2)
	v_cmp_eq_u32_e32 vcc_lo, 0, v0
	v_cndmask_b32_e32 v28, v1, v10, vcc_lo
; %bb.128:
	s_or_b32 exec_lo, exec_lo, s1
	v_and_b32_e32 v0, 0x7f800000, v11
	s_mov_b32 s1, exec_lo
	s_delay_alu instid0(VALU_DEP_1)
	v_cmpx_ne_u32_e32 0x7f800000, v0
	s_xor_b32 s1, exec_lo, s1
; %bb.129:
	v_bfe_u32 v0, v11, 16, 1
	s_delay_alu instid0(VALU_DEP_1)
	v_add3_u32 v29, v11, v0, 0x7fff
; %bb.130:
	s_and_not1_saveexec_b32 s1, s1
; %bb.131:
	v_and_b32_e32 v0, 0xffff, v11
	v_or_b32_e32 v1, 0x10000, v11
	s_delay_alu instid0(VALU_DEP_2) | instskip(NEXT) | instid1(VALU_DEP_2)
	v_cmp_eq_u32_e32 vcc_lo, 0, v0
	v_cndmask_b32_e32 v29, v1, v11, vcc_lo
; %bb.132:
	s_or_b32 exec_lo, exec_lo, s1
	v_and_b32_e32 v0, 0x7f800000, v12
	s_mov_b32 s1, exec_lo
                                        ; implicit-def: $vgpr35
	s_delay_alu instid0(VALU_DEP_1)
	v_cmpx_ne_u32_e32 0x7f800000, v0
	s_xor_b32 s1, exec_lo, s1
; %bb.133:
	v_bfe_u32 v0, v12, 16, 1
	s_delay_alu instid0(VALU_DEP_1)
	v_add3_u32 v35, v12, v0, 0x7fff
; %bb.134:
	s_and_not1_saveexec_b32 s1, s1
; %bb.135:
	v_and_b32_e32 v0, 0xffff, v12
	v_or_b32_e32 v1, 0x10000, v12
	s_delay_alu instid0(VALU_DEP_2) | instskip(NEXT) | instid1(VALU_DEP_2)
	v_cmp_eq_u32_e32 vcc_lo, 0, v0
	v_cndmask_b32_e32 v35, v1, v12, vcc_lo
; %bb.136:
	s_or_b32 exec_lo, exec_lo, s1
	v_and_b32_e32 v0, 0x7f800000, v13
	s_mov_b32 s1, exec_lo
	s_delay_alu instid0(VALU_DEP_1)
	v_cmpx_ne_u32_e32 0x7f800000, v0
	s_xor_b32 s1, exec_lo, s1
; %bb.137:
	v_bfe_u32 v0, v13, 16, 1
	s_delay_alu instid0(VALU_DEP_1)
	v_add3_u32 v36, v13, v0, 0x7fff
; %bb.138:
	s_and_not1_saveexec_b32 s1, s1
; %bb.139:
	v_and_b32_e32 v0, 0xffff, v13
	v_or_b32_e32 v1, 0x10000, v13
	s_delay_alu instid0(VALU_DEP_2) | instskip(NEXT) | instid1(VALU_DEP_2)
	v_cmp_eq_u32_e32 vcc_lo, 0, v0
	v_cndmask_b32_e32 v36, v1, v13, vcc_lo
; %bb.140:
	s_or_b32 exec_lo, exec_lo, s1
	v_and_b32_e32 v0, 0x7f800000, v14
	s_mov_b32 s1, exec_lo
                                        ; implicit-def: $vgpr37
	s_delay_alu instid0(VALU_DEP_1)
	v_cmpx_ne_u32_e32 0x7f800000, v0
	s_xor_b32 s1, exec_lo, s1
; %bb.141:
	v_bfe_u32 v0, v14, 16, 1
	s_delay_alu instid0(VALU_DEP_1)
	v_add3_u32 v37, v14, v0, 0x7fff
; %bb.142:
	s_and_not1_saveexec_b32 s1, s1
; %bb.143:
	v_and_b32_e32 v0, 0xffff, v14
	v_or_b32_e32 v1, 0x10000, v14
	s_delay_alu instid0(VALU_DEP_2) | instskip(NEXT) | instid1(VALU_DEP_2)
	v_cmp_eq_u32_e32 vcc_lo, 0, v0
	v_cndmask_b32_e32 v37, v1, v14, vcc_lo
; %bb.144:
	s_or_b32 exec_lo, exec_lo, s1
	v_and_b32_e32 v0, 0x7f800000, v15
	s_mov_b32 s1, exec_lo
	s_delay_alu instid0(VALU_DEP_1)
	v_cmpx_ne_u32_e32 0x7f800000, v0
	s_xor_b32 s1, exec_lo, s1
; %bb.145:
	v_bfe_u32 v0, v15, 16, 1
	s_delay_alu instid0(VALU_DEP_1)
	v_add3_u32 v38, v15, v0, 0x7fff
                                        ; implicit-def: $vgpr0_vgpr1_vgpr2_vgpr3_vgpr4_vgpr5_vgpr6_vgpr7_vgpr8_vgpr9_vgpr10_vgpr11_vgpr12_vgpr13_vgpr14_vgpr15
; %bb.146:
	s_and_not1_saveexec_b32 s1, s1
; %bb.147:
	v_and_b32_e32 v0, 0xffff, v15
	v_or_b32_e32 v1, 0x10000, v15
	s_delay_alu instid0(VALU_DEP_2) | instskip(NEXT) | instid1(VALU_DEP_2)
	v_cmp_eq_u32_e32 vcc_lo, 0, v0
	v_cndmask_b32_e32 v38, v1, v15, vcc_lo
; %bb.148:
	s_or_b32 exec_lo, exec_lo, s1
	v_mad_i64_i32 v[0:1], null, v31, s7, v[33:34]
	s_or_b32 s2, s2, exec_lo
	s_delay_alu instid0(VALU_DEP_1) | instskip(NEXT) | instid1(VALU_DEP_1)
	v_lshlrev_b64 v[0:1], 10, v[0:1]
	v_add_co_u32 v39, vcc_lo, s8, v0
	s_delay_alu instid0(VALU_DEP_2) | instskip(SKIP_1) | instid1(SALU_CYCLE_1)
	v_add_co_ci_u32_e32 v40, vcc_lo, s9, v1, vcc_lo
	s_or_b32 exec_lo, exec_lo, s0
	s_and_b32 exec_lo, exec_lo, s2
	s_cbranch_execnz .LBB11_11
	s_branch .LBB11_12
	.section	.rodata,"a",@progbits
	.p2align	6, 0x0
	.amdhsa_kernel _ZN4vllm21deepseek_v4_fused_ops30fusedDeepseekV4FullCacheKernelIN3c108BFloat16ELb0ELb0EEEvPT_PhllPKS4_S6_PKlSA_PKfSC_SC_fiiiill
		.amdhsa_group_segment_fixed_size 0
		.amdhsa_private_segment_fixed_size 0
		.amdhsa_kernarg_size 384
		.amdhsa_user_sgpr_count 15
		.amdhsa_user_sgpr_dispatch_ptr 0
		.amdhsa_user_sgpr_queue_ptr 0
		.amdhsa_user_sgpr_kernarg_segment_ptr 1
		.amdhsa_user_sgpr_dispatch_id 0
		.amdhsa_user_sgpr_private_segment_size 0
		.amdhsa_wavefront_size32 1
		.amdhsa_uses_dynamic_stack 0
		.amdhsa_enable_private_segment 0
		.amdhsa_system_sgpr_workgroup_id_x 1
		.amdhsa_system_sgpr_workgroup_id_y 0
		.amdhsa_system_sgpr_workgroup_id_z 0
		.amdhsa_system_sgpr_workgroup_info 0
		.amdhsa_system_vgpr_workitem_id 0
		.amdhsa_next_free_vgpr 56
		.amdhsa_next_free_sgpr 20
		.amdhsa_reserve_vcc 1
		.amdhsa_float_round_mode_32 0
		.amdhsa_float_round_mode_16_64 0
		.amdhsa_float_denorm_mode_32 3
		.amdhsa_float_denorm_mode_16_64 3
		.amdhsa_dx10_clamp 1
		.amdhsa_ieee_mode 1
		.amdhsa_fp16_overflow 0
		.amdhsa_workgroup_processor_mode 1
		.amdhsa_memory_ordered 1
		.amdhsa_forward_progress 0
		.amdhsa_shared_vgpr_count 0
		.amdhsa_exception_fp_ieee_invalid_op 0
		.amdhsa_exception_fp_denorm_src 0
		.amdhsa_exception_fp_ieee_div_zero 0
		.amdhsa_exception_fp_ieee_overflow 0
		.amdhsa_exception_fp_ieee_underflow 0
		.amdhsa_exception_fp_ieee_inexact 0
		.amdhsa_exception_int_div_zero 0
	.end_amdhsa_kernel
	.section	.text._ZN4vllm21deepseek_v4_fused_ops30fusedDeepseekV4FullCacheKernelIN3c108BFloat16ELb0ELb0EEEvPT_PhllPKS4_S6_PKlSA_PKfSC_SC_fiiiill,"axG",@progbits,_ZN4vllm21deepseek_v4_fused_ops30fusedDeepseekV4FullCacheKernelIN3c108BFloat16ELb0ELb0EEEvPT_PhllPKS4_S6_PKlSA_PKfSC_SC_fiiiill,comdat
.Lfunc_end11:
	.size	_ZN4vllm21deepseek_v4_fused_ops30fusedDeepseekV4FullCacheKernelIN3c108BFloat16ELb0ELb0EEEvPT_PhllPKS4_S6_PKlSA_PKfSC_SC_fiiiill, .Lfunc_end11-_ZN4vllm21deepseek_v4_fused_ops30fusedDeepseekV4FullCacheKernelIN3c108BFloat16ELb0ELb0EEEvPT_PhllPKS4_S6_PKlSA_PKfSC_SC_fiiiill
                                        ; -- End function
	.section	.AMDGPU.csdata,"",@progbits
; Kernel info:
; codeLenInByte = 5752
; NumSgprs: 22
; NumVgprs: 56
; ScratchSize: 0
; MemoryBound: 0
; FloatMode: 240
; IeeeMode: 1
; LDSByteSize: 0 bytes/workgroup (compile time only)
; SGPRBlocks: 2
; VGPRBlocks: 6
; NumSGPRsForWavesPerEU: 22
; NumVGPRsForWavesPerEU: 56
; Occupancy: 16
; WaveLimiterHint : 1
; COMPUTE_PGM_RSRC2:SCRATCH_EN: 0
; COMPUTE_PGM_RSRC2:USER_SGPR: 15
; COMPUTE_PGM_RSRC2:TRAP_HANDLER: 0
; COMPUTE_PGM_RSRC2:TGID_X_EN: 1
; COMPUTE_PGM_RSRC2:TGID_Y_EN: 0
; COMPUTE_PGM_RSRC2:TGID_Z_EN: 0
; COMPUTE_PGM_RSRC2:TIDIG_COMP_CNT: 0
	.section	.text._ZN4vllm21deepseek_v4_fused_ops30fusedDeepseekV4FullCacheKernelIN3c104HalfELb1ELb1EEEvPT_PhllPKS4_S6_PKlSA_PKfSC_SC_fiiiill,"axG",@progbits,_ZN4vllm21deepseek_v4_fused_ops30fusedDeepseekV4FullCacheKernelIN3c104HalfELb1ELb1EEEvPT_PhllPKS4_S6_PKlSA_PKfSC_SC_fiiiill,comdat
	.protected	_ZN4vllm21deepseek_v4_fused_ops30fusedDeepseekV4FullCacheKernelIN3c104HalfELb1ELb1EEEvPT_PhllPKS4_S6_PKlSA_PKfSC_SC_fiiiill ; -- Begin function _ZN4vllm21deepseek_v4_fused_ops30fusedDeepseekV4FullCacheKernelIN3c104HalfELb1ELb1EEEvPT_PhllPKS4_S6_PKlSA_PKfSC_SC_fiiiill
	.globl	_ZN4vllm21deepseek_v4_fused_ops30fusedDeepseekV4FullCacheKernelIN3c104HalfELb1ELb1EEEvPT_PhllPKS4_S6_PKlSA_PKfSC_SC_fiiiill
	.p2align	8
	.type	_ZN4vllm21deepseek_v4_fused_ops30fusedDeepseekV4FullCacheKernelIN3c104HalfELb1ELb1EEEvPT_PhllPKS4_S6_PKlSA_PKfSC_SC_fiiiill,@function
_ZN4vllm21deepseek_v4_fused_ops30fusedDeepseekV4FullCacheKernelIN3c104HalfELb1ELb1EEEvPT_PhllPKS4_S6_PKlSA_PKfSC_SC_fiiiill: ; @_ZN4vllm21deepseek_v4_fused_ops30fusedDeepseekV4FullCacheKernelIN3c104HalfELb1ELb1EEEvPT_PhllPKS4_S6_PKlSA_PKfSC_SC_fiiiill
; %bb.0:
	s_clause 0x1
	s_load_b128 s[4:7], s[0:1], 0x58
	s_load_b32 s3, s[0:1], 0x8c
	v_lshrrev_b32_e32 v3, 5, v0
	s_waitcnt lgkmcnt(0)
	s_add_i32 s2, s7, 1
	s_bfe_u32 s3, s3, 0xb0005
	s_abs_i32 s8, s2
	s_delay_alu instid0(SALU_CYCLE_1) | instskip(SKIP_1) | instid1(VALU_DEP_1)
	v_cvt_f32_u32_e32 v1, s8
	s_sub_i32 s9, 0, s8
	v_rcp_iflag_f32_e32 v1, v1
	s_waitcnt_depctr 0xfff
	v_mul_f32_e32 v1, 0x4f7ffffe, v1
	s_delay_alu instid0(VALU_DEP_1) | instskip(NEXT) | instid1(VALU_DEP_1)
	v_cvt_u32_f32_e32 v4, v1
	v_mul_lo_u32 v5, s9, v4
	v_mad_u64_u32 v[1:2], null, s15, s3, v[3:4]
	s_mov_b32 s3, exec_lo
	s_delay_alu instid0(VALU_DEP_2) | instskip(NEXT) | instid1(VALU_DEP_2)
	v_mul_hi_u32 v2, v4, v5
	v_sub_nc_u32_e32 v3, 0, v1
	s_delay_alu instid0(VALU_DEP_1) | instskip(NEXT) | instid1(VALU_DEP_3)
	v_max_i32_e32 v3, v1, v3
	v_add_nc_u32_e32 v2, v4, v2
	s_delay_alu instid0(VALU_DEP_1) | instskip(NEXT) | instid1(VALU_DEP_1)
	v_mul_hi_u32 v2, v3, v2
	v_mul_lo_u32 v4, v2, s8
	s_delay_alu instid0(VALU_DEP_1) | instskip(NEXT) | instid1(VALU_DEP_1)
	v_sub_nc_u32_e32 v3, v3, v4
	v_subrev_nc_u32_e32 v5, s8, v3
	v_cmp_le_u32_e32 vcc_lo, s8, v3
	s_delay_alu instid0(VALU_DEP_2) | instskip(NEXT) | instid1(VALU_DEP_1)
	v_dual_cndmask_b32 v3, v3, v5 :: v_dual_add_nc_u32 v4, 1, v2
	v_cndmask_b32_e32 v2, v2, v4, vcc_lo
	v_xor_b32_e32 v4, s2, v1
	s_delay_alu instid0(VALU_DEP_3) | instskip(NEXT) | instid1(VALU_DEP_3)
	v_cmp_le_u32_e32 vcc_lo, s8, v3
	v_add_nc_u32_e32 v5, 1, v2
	s_delay_alu instid0(VALU_DEP_3) | instskip(NEXT) | instid1(VALU_DEP_2)
	v_ashrrev_i32_e32 v4, 31, v4
	v_cndmask_b32_e32 v2, v2, v5, vcc_lo
	s_delay_alu instid0(VALU_DEP_1) | instskip(NEXT) | instid1(VALU_DEP_1)
	v_xor_b32_e32 v2, v2, v4
	v_sub_nc_u32_e32 v33, v2, v4
	s_delay_alu instid0(VALU_DEP_1)
	v_cmpx_gt_i32_e64 s5, v33
	s_cbranch_execz .LBB12_12
; %bb.1:
	v_mul_lo_u32 v2, v33, s2
	s_load_b32 s10, s[0:1], 0x68
	v_cmp_gt_i32_e64 s3, s6, v33
	s_delay_alu instid0(VALU_DEP_2) | instskip(NEXT) | instid1(VALU_DEP_1)
	v_sub_nc_u32_e32 v31, v1, v2
	v_cmp_ne_u32_e64 s2, s7, v31
	v_cmp_eq_u32_e32 vcc_lo, s7, v31
	s_delay_alu instid0(VALU_DEP_2) | instskip(NEXT) | instid1(SALU_CYCLE_1)
	s_or_b32 s3, s3, s2
	s_and_b32 exec_lo, exec_lo, s3
	s_cbranch_execz .LBB12_12
; %bb.2:
	s_load_b64 s[8:9], s[0:1], 0x20
	v_ashrrev_i32_e32 v34, 31, v33
	v_ashrrev_i32_e32 v32, 31, v31
	s_delay_alu instid0(VALU_DEP_2)
	v_dual_mov_b32 v3, v33 :: v_dual_mov_b32 v4, v34
	s_waitcnt lgkmcnt(0)
	v_dual_mov_b32 v1, s8 :: v_dual_mov_b32 v2, s9
	s_and_saveexec_b32 s3, s2
	s_cbranch_execz .LBB12_4
; %bb.3:
	s_load_b64 s[8:9], s[0:1], 0x0
	v_mad_i64_i32 v[3:4], null, v33, s7, v[31:32]
	s_waitcnt lgkmcnt(0)
	v_dual_mov_b32 v1, s8 :: v_dual_mov_b32 v2, s9
.LBB12_4:
	s_or_b32 exec_lo, exec_lo, s3
	v_lshlrev_b32_e32 v0, 4, v0
	s_delay_alu instid0(VALU_DEP_3) | instskip(NEXT) | instid1(VALU_DEP_2)
	v_lshlrev_b64 v[3:4], 10, v[3:4]
	v_and_b32_e32 v37, 0x1f0, v0
	s_delay_alu instid0(VALU_DEP_2) | instskip(NEXT) | instid1(VALU_DEP_1)
	v_add_co_u32 v1, s3, v1, v3
	v_add_co_ci_u32_e64 v2, s3, v2, v4, s3
	s_delay_alu instid0(VALU_DEP_3) | instskip(NEXT) | instid1(VALU_DEP_1)
	v_lshlrev_b32_e32 v0, 1, v37
	v_add_co_u32 v0, s3, v1, v0
	s_delay_alu instid0(VALU_DEP_1)
	v_add_co_ci_u32_e64 v1, s3, 0, v2, s3
	s_clause 0x1
	global_load_b128 v[4:7], v[0:1], off
	global_load_b128 v[12:15], v[0:1], off offset:16
	s_waitcnt vmcnt(1)
	v_cvt_f32_f16_e32 v0, v4
	v_lshrrev_b32_e32 v1, 16, v4
	v_cvt_f32_f16_e32 v2, v5
	v_lshrrev_b32_e32 v3, 16, v5
	;; [unrolled: 2-line block ×4, first 2 shown]
	s_waitcnt vmcnt(0)
	v_cvt_f32_f16_e32 v8, v12
	v_lshrrev_b32_e32 v9, 16, v12
	v_cvt_f32_f16_e32 v10, v13
	v_lshrrev_b32_e32 v11, 16, v13
	;; [unrolled: 2-line block ×4, first 2 shown]
	v_cvt_f32_f16_e32 v1, v1
	v_cvt_f32_f16_e32 v3, v3
	v_cvt_f32_f16_e32 v5, v5
	v_cvt_f32_f16_e32 v7, v7
	v_cvt_f32_f16_e32 v9, v9
	v_cvt_f32_f16_e32 v11, v11
	v_cvt_f32_f16_e32 v13, v13
	v_cvt_f32_f16_e32 v15, v15
	s_and_saveexec_b32 s3, s2
	s_cbranch_execz .LBB12_6
; %bb.5:
	v_mbcnt_lo_u32_b32 v17, -1, 0
	s_delay_alu instid0(VALU_DEP_1) | instskip(SKIP_1) | instid1(VALU_DEP_2)
	v_xor_b32_e32 v18, 16, v17
	v_xor_b32_e32 v19, 8, v17
	v_cmp_gt_i32_e64 s2, 32, v18
	s_delay_alu instid0(VALU_DEP_1) | instskip(NEXT) | instid1(VALU_DEP_3)
	v_cndmask_b32_e64 v18, v17, v18, s2
	v_cmp_gt_i32_e64 s2, 32, v19
	s_delay_alu instid0(VALU_DEP_2) | instskip(NEXT) | instid1(VALU_DEP_2)
	v_lshlrev_b32_e32 v18, 2, v18
	v_cndmask_b32_e64 v19, v17, v19, s2
	s_delay_alu instid0(VALU_DEP_1) | instskip(NEXT) | instid1(VALU_DEP_1)
	v_dual_mul_f32 v16, v1, v1 :: v_dual_lshlrev_b32 v19, 2, v19
	v_fmac_f32_e32 v16, v0, v0
	s_delay_alu instid0(VALU_DEP_1) | instskip(NEXT) | instid1(VALU_DEP_1)
	v_fmac_f32_e32 v16, v2, v2
	v_fmac_f32_e32 v16, v3, v3
	s_delay_alu instid0(VALU_DEP_1) | instskip(NEXT) | instid1(VALU_DEP_1)
	v_fmac_f32_e32 v16, v4, v4
	;; [unrolled: 3-line block ×7, first 2 shown]
	v_fmac_f32_e32 v16, v15, v15
	ds_bpermute_b32 v18, v18, v16
	s_waitcnt lgkmcnt(0)
	v_add_f32_e32 v16, v16, v18
	ds_bpermute_b32 v18, v19, v16
	v_xor_b32_e32 v19, 4, v17
	s_delay_alu instid0(VALU_DEP_1) | instskip(NEXT) | instid1(VALU_DEP_1)
	v_cmp_gt_i32_e64 s2, 32, v19
	v_cndmask_b32_e64 v19, v17, v19, s2
	s_waitcnt lgkmcnt(0)
	s_delay_alu instid0(VALU_DEP_1) | instskip(SKIP_2) | instid1(VALU_DEP_1)
	v_dual_add_f32 v16, v16, v18 :: v_dual_lshlrev_b32 v19, 2, v19
	ds_bpermute_b32 v18, v19, v16
	v_xor_b32_e32 v19, 2, v17
	v_cmp_gt_i32_e64 s2, 32, v19
	s_delay_alu instid0(VALU_DEP_1) | instskip(SKIP_1) | instid1(VALU_DEP_1)
	v_cndmask_b32_e64 v19, v17, v19, s2
	s_waitcnt lgkmcnt(0)
	v_dual_add_f32 v16, v16, v18 :: v_dual_lshlrev_b32 v19, 2, v19
	ds_bpermute_b32 v18, v19, v16
	v_xor_b32_e32 v19, 1, v17
	s_delay_alu instid0(VALU_DEP_1) | instskip(NEXT) | instid1(VALU_DEP_1)
	v_cmp_gt_i32_e64 s2, 32, v19
	v_cndmask_b32_e64 v17, v17, v19, s2
	s_waitcnt lgkmcnt(0)
	s_delay_alu instid0(VALU_DEP_1) | instskip(SKIP_4) | instid1(VALU_DEP_1)
	v_dual_add_f32 v16, v16, v18 :: v_dual_lshlrev_b32 v17, 2, v17
	v_mov_b32_e32 v18, s4
	ds_bpermute_b32 v17, v17, v16
	s_waitcnt lgkmcnt(0)
	v_add_f32_e32 v16, v16, v17
	v_fmamk_f32 v16, v16, 0x3b000000, v18
	s_delay_alu instid0(VALU_DEP_1) | instskip(SKIP_1) | instid1(VALU_DEP_1)
	v_mul_f32_e32 v17, 0x4b800000, v16
	v_cmp_gt_f32_e64 s2, 0x800000, v16
	v_cndmask_b32_e64 v16, v16, v17, s2
	s_delay_alu instid0(VALU_DEP_1) | instskip(SKIP_2) | instid1(VALU_DEP_1)
	v_rsq_f32_e32 v16, v16
	s_waitcnt_depctr 0xfff
	v_mul_f32_e32 v17, 0x45800000, v16
	v_cndmask_b32_e64 v16, v16, v17, s2
	s_delay_alu instid0(VALU_DEP_1)
	v_mul_f32_e32 v0, v16, v0
	v_mul_f32_e32 v1, v16, v1
	;; [unrolled: 1-line block ×16, first 2 shown]
.LBB12_6:
	s_or_b32 exec_lo, exec_lo, s3
	v_lshlrev_b64 v[35:36], 3, v[33:34]
	s_mov_b32 s3, exec_lo
	v_cmpx_lt_u32_e32 0x1bf, v37
	s_cbranch_execz .LBB12_8
; %bb.7:
	s_load_b128 s[4:7], s[0:1], 0x38
	v_dual_mov_b32 v19, 0 :: v_dual_add_nc_u32 v18, 0xfffffe40, v37
	s_delay_alu instid0(VALU_DEP_1) | instskip(NEXT) | instid1(VALU_DEP_1)
	v_lshrrev_b32_e32 v18, 1, v18
	v_lshlrev_b64 v[18:19], 2, v[18:19]
	s_waitcnt lgkmcnt(0)
	v_add_co_u32 v16, s2, s4, v35
	s_delay_alu instid0(VALU_DEP_1) | instskip(SKIP_3) | instid1(VALU_DEP_1)
	v_add_co_ci_u32_e64 v17, s2, s5, v36, s2
	global_load_b64 v[16:17], v[16:17], off
	s_waitcnt vmcnt(0)
	v_lshlrev_b64 v[16:17], 8, v[16:17]
	v_add_co_u32 v16, s2, s6, v16
	s_delay_alu instid0(VALU_DEP_1) | instskip(NEXT) | instid1(VALU_DEP_2)
	v_add_co_ci_u32_e64 v17, s2, s7, v17, s2
	v_add_co_u32 v16, s2, v16, v18
	s_delay_alu instid0(VALU_DEP_1)
	v_add_co_ci_u32_e64 v17, s2, v17, v19, s2
	s_clause 0x3
	global_load_b128 v[38:41], v[16:17], off offset:128
	global_load_b128 v[42:45], v[16:17], off
	global_load_b128 v[46:49], v[16:17], off offset:144
	global_load_b128 v[50:53], v[16:17], off offset:16
	s_waitcnt vmcnt(2)
	v_dual_mul_f32 v17, v38, v1 :: v_dual_mul_f32 v18, v43, v3
	v_dual_mul_f32 v16, v42, v1 :: v_dual_mul_f32 v1, v39, v3
	;; [unrolled: 1-line block ×4, first 2 shown]
	s_waitcnt vmcnt(0)
	v_dual_mul_f32 v7, v46, v9 :: v_dual_mul_f32 v26, v51, v11
	v_dual_mul_f32 v24, v50, v9 :: v_dual_mul_f32 v9, v47, v11
	;; [unrolled: 1-line block ×4, first 2 shown]
	v_fma_f32 v15, v42, v0, -v17
	v_fmac_f32_e32 v16, v38, v0
	v_fma_f32 v17, v43, v2, -v1
	v_fmac_f32_e32 v18, v39, v2
	;; [unrolled: 2-line block ×8, first 2 shown]
	v_mov_b32_e32 v0, v15
	v_dual_mov_b32 v1, v16 :: v_dual_mov_b32 v2, v17
	v_dual_mov_b32 v3, v18 :: v_dual_mov_b32 v4, v19
	;; [unrolled: 1-line block ×7, first 2 shown]
	v_mov_b32_e32 v15, v30
.LBB12_8:
	s_or_b32 exec_lo, exec_lo, s3
	s_mov_b32 s6, 0
                                        ; implicit-def: $vgpr19
                                        ; implicit-def: $vgpr20_vgpr21
	s_and_saveexec_b32 s2, vcc_lo
	s_delay_alu instid0(SALU_CYCLE_1)
	s_xor_b32 s11, exec_lo, s2
	s_cbranch_execnz .LBB12_13
; %bb.9:
	s_and_not1_saveexec_b32 s7, s11
	s_cbranch_execnz .LBB12_308
.LBB12_10:
	s_or_b32 exec_lo, exec_lo, s7
	s_delay_alu instid0(SALU_CYCLE_1)
	s_and_b32 exec_lo, exec_lo, s6
	s_cbranch_execz .LBB12_12
.LBB12_11:
	v_add_co_u32 v0, vcc_lo, v20, v37
	v_add_co_ci_u32_e32 v1, vcc_lo, 0, v21, vcc_lo
	global_store_b128 v[0:1], v[16:19], off
.LBB12_12:
	s_nop 0
	s_sendmsg sendmsg(MSG_DEALLOC_VGPRS)
	s_endpgm
.LBB12_13:
	s_load_b64 s[2:3], s[0:1], 0x30
	s_mov_b32 s8, 0
	s_mov_b32 s12, exec_lo
                                        ; implicit-def: $vgpr19
                                        ; implicit-def: $vgpr20_vgpr21
	s_waitcnt lgkmcnt(0)
	v_add_co_u32 v16, vcc_lo, s2, v35
	v_add_co_ci_u32_e32 v17, vcc_lo, s3, v36, vcc_lo
	global_load_b64 v[16:17], v[16:17], off
	s_waitcnt vmcnt(0)
	v_cmpx_lt_i64_e32 -1, v[16:17]
	s_cbranch_execz .LBB12_307
; %bb.14:
	s_load_b64 s[4:5], s[0:1], 0x48
	s_ashr_i32 s13, s10, 31
	v_mov_b32_e32 v18, 0
	v_or_b32_e32 v19, s13, v17
	s_delay_alu instid0(VALU_DEP_1) | instskip(SKIP_1) | instid1(SALU_CYCLE_1)
	v_cmp_ne_u64_e32 vcc_lo, 0, v[18:19]
                                        ; implicit-def: $vgpr18_vgpr19
	s_and_saveexec_b32 s2, vcc_lo
	s_xor_b32 s3, exec_lo, s2
	s_cbranch_execz .LBB12_16
; %bb.15:
	s_add_u32 s8, s10, s13
	s_mov_b32 s6, s13
	s_mov_b32 s7, s13
	s_addc_u32 s9, s13, s13
	s_delay_alu instid0(SALU_CYCLE_1) | instskip(NEXT) | instid1(SALU_CYCLE_1)
	s_xor_b64 s[8:9], s[8:9], s[6:7]
	v_cvt_f32_u32_e32 v18, s8
	v_cvt_f32_u32_e32 v19, s9
	s_sub_u32 s2, 0, s8
	s_subb_u32 s14, 0, s9
	s_delay_alu instid0(VALU_DEP_1) | instskip(NEXT) | instid1(VALU_DEP_1)
	v_fmamk_f32 v18, v19, 0x4f800000, v18
	v_rcp_f32_e32 v18, v18
	s_waitcnt_depctr 0xfff
	v_mul_f32_e32 v18, 0x5f7ffffc, v18
	s_delay_alu instid0(VALU_DEP_1) | instskip(NEXT) | instid1(VALU_DEP_1)
	v_mul_f32_e32 v19, 0x2f800000, v18
	v_trunc_f32_e32 v19, v19
	s_delay_alu instid0(VALU_DEP_1) | instskip(SKIP_1) | instid1(VALU_DEP_2)
	v_fmamk_f32 v18, v19, 0xcf800000, v18
	v_cvt_u32_f32_e32 v19, v19
	v_cvt_u32_f32_e32 v18, v18
	s_delay_alu instid0(VALU_DEP_2) | instskip(NEXT) | instid1(VALU_DEP_2)
	v_mul_lo_u32 v20, s2, v19
	v_mul_hi_u32 v21, s2, v18
	v_mul_lo_u32 v22, s14, v18
	s_delay_alu instid0(VALU_DEP_2) | instskip(SKIP_1) | instid1(VALU_DEP_2)
	v_add_nc_u32_e32 v20, v21, v20
	v_mul_lo_u32 v21, s2, v18
	v_add_nc_u32_e32 v20, v20, v22
	s_delay_alu instid0(VALU_DEP_2) | instskip(NEXT) | instid1(VALU_DEP_2)
	v_mul_hi_u32 v22, v18, v21
	v_mul_lo_u32 v23, v18, v20
	v_mul_hi_u32 v24, v18, v20
	v_mul_hi_u32 v25, v19, v21
	v_mul_lo_u32 v21, v19, v21
	v_mul_hi_u32 v26, v19, v20
	v_mul_lo_u32 v20, v19, v20
	v_add_co_u32 v22, vcc_lo, v22, v23
	v_add_co_ci_u32_e32 v23, vcc_lo, 0, v24, vcc_lo
	s_delay_alu instid0(VALU_DEP_2) | instskip(NEXT) | instid1(VALU_DEP_2)
	v_add_co_u32 v21, vcc_lo, v22, v21
	v_add_co_ci_u32_e32 v21, vcc_lo, v23, v25, vcc_lo
	v_add_co_ci_u32_e32 v22, vcc_lo, 0, v26, vcc_lo
	v_ashrrev_i32_e32 v25, 31, v17
	s_delay_alu instid0(VALU_DEP_3) | instskip(NEXT) | instid1(VALU_DEP_3)
	v_add_co_u32 v20, vcc_lo, v21, v20
	v_add_co_ci_u32_e32 v21, vcc_lo, 0, v22, vcc_lo
	s_delay_alu instid0(VALU_DEP_2) | instskip(NEXT) | instid1(VALU_DEP_2)
	v_add_co_u32 v18, vcc_lo, v18, v20
	v_add_co_ci_u32_e32 v19, vcc_lo, v19, v21, vcc_lo
	s_delay_alu instid0(VALU_DEP_2) | instskip(SKIP_1) | instid1(VALU_DEP_3)
	v_mul_hi_u32 v20, s2, v18
	v_mul_lo_u32 v22, s14, v18
	v_mul_lo_u32 v21, s2, v19
	s_delay_alu instid0(VALU_DEP_1) | instskip(SKIP_1) | instid1(VALU_DEP_2)
	v_add_nc_u32_e32 v20, v20, v21
	v_mul_lo_u32 v21, s2, v18
	v_add_nc_u32_e32 v20, v20, v22
	s_delay_alu instid0(VALU_DEP_2) | instskip(NEXT) | instid1(VALU_DEP_2)
	v_mul_hi_u32 v22, v18, v21
	v_mul_lo_u32 v23, v18, v20
	v_mul_hi_u32 v24, v18, v20
	v_mul_hi_u32 v26, v19, v21
	v_mul_lo_u32 v21, v19, v21
	v_mul_hi_u32 v27, v19, v20
	v_mul_lo_u32 v20, v19, v20
	v_add_co_u32 v22, vcc_lo, v22, v23
	v_add_co_ci_u32_e32 v23, vcc_lo, 0, v24, vcc_lo
	s_delay_alu instid0(VALU_DEP_2) | instskip(NEXT) | instid1(VALU_DEP_2)
	v_add_co_u32 v21, vcc_lo, v22, v21
	v_add_co_ci_u32_e32 v21, vcc_lo, v23, v26, vcc_lo
	v_add_co_ci_u32_e32 v22, vcc_lo, 0, v27, vcc_lo
	v_add_co_u32 v23, vcc_lo, v16, v25
	v_add_co_ci_u32_e32 v24, vcc_lo, v17, v25, vcc_lo
	s_delay_alu instid0(VALU_DEP_4) | instskip(NEXT) | instid1(VALU_DEP_4)
	v_add_co_u32 v20, vcc_lo, v21, v20
	v_add_co_ci_u32_e32 v21, vcc_lo, 0, v22, vcc_lo
	s_delay_alu instid0(VALU_DEP_4) | instskip(NEXT) | instid1(VALU_DEP_3)
	v_xor_b32_e32 v26, v23, v25
	v_add_co_u32 v22, vcc_lo, v18, v20
	s_delay_alu instid0(VALU_DEP_3) | instskip(SKIP_1) | instid1(VALU_DEP_3)
	v_add_co_ci_u32_e32 v27, vcc_lo, v19, v21, vcc_lo
	v_xor_b32_e32 v24, v24, v25
	v_mul_hi_u32 v28, v26, v22
	s_delay_alu instid0(VALU_DEP_3) | instskip(NEXT) | instid1(VALU_DEP_3)
	v_mad_u64_u32 v[18:19], null, v26, v27, 0
	v_mad_u64_u32 v[20:21], null, v24, v22, 0
	;; [unrolled: 1-line block ×3, first 2 shown]
	s_delay_alu instid0(VALU_DEP_3) | instskip(NEXT) | instid1(VALU_DEP_4)
	v_add_co_u32 v18, vcc_lo, v28, v18
	v_add_co_ci_u32_e32 v19, vcc_lo, 0, v19, vcc_lo
	s_delay_alu instid0(VALU_DEP_2) | instskip(NEXT) | instid1(VALU_DEP_2)
	v_add_co_u32 v18, vcc_lo, v18, v20
	v_add_co_ci_u32_e32 v18, vcc_lo, v19, v21, vcc_lo
	v_add_co_ci_u32_e32 v19, vcc_lo, 0, v23, vcc_lo
	s_delay_alu instid0(VALU_DEP_2) | instskip(NEXT) | instid1(VALU_DEP_2)
	v_add_co_u32 v20, vcc_lo, v18, v22
	v_add_co_ci_u32_e32 v21, vcc_lo, 0, v19, vcc_lo
	s_delay_alu instid0(VALU_DEP_2) | instskip(SKIP_1) | instid1(VALU_DEP_3)
	v_mul_lo_u32 v22, s9, v20
	v_mad_u64_u32 v[18:19], null, s8, v20, 0
	v_mul_lo_u32 v23, s8, v21
	s_delay_alu instid0(VALU_DEP_2) | instskip(NEXT) | instid1(VALU_DEP_2)
	v_sub_co_u32 v18, vcc_lo, v26, v18
	v_add3_u32 v19, v19, v23, v22
	s_delay_alu instid0(VALU_DEP_1) | instskip(NEXT) | instid1(VALU_DEP_1)
	v_sub_nc_u32_e32 v22, v24, v19
	v_subrev_co_ci_u32_e64 v22, s2, s9, v22, vcc_lo
	v_add_co_u32 v23, s2, v20, 2
	s_delay_alu instid0(VALU_DEP_1) | instskip(SKIP_3) | instid1(VALU_DEP_3)
	v_add_co_ci_u32_e64 v26, s2, 0, v21, s2
	v_sub_co_u32 v27, s2, v18, s8
	v_sub_co_ci_u32_e32 v19, vcc_lo, v24, v19, vcc_lo
	v_subrev_co_ci_u32_e64 v22, s2, 0, v22, s2
	v_cmp_le_u32_e32 vcc_lo, s8, v27
	s_delay_alu instid0(VALU_DEP_3) | instskip(SKIP_1) | instid1(VALU_DEP_4)
	v_cmp_eq_u32_e64 s2, s9, v19
	v_cndmask_b32_e64 v24, 0, -1, vcc_lo
	v_cmp_le_u32_e32 vcc_lo, s9, v22
	v_cndmask_b32_e64 v27, 0, -1, vcc_lo
	v_cmp_le_u32_e32 vcc_lo, s8, v18
	;; [unrolled: 2-line block ×3, first 2 shown]
	v_cndmask_b32_e64 v28, 0, -1, vcc_lo
	v_cmp_eq_u32_e32 vcc_lo, s9, v22
	s_delay_alu instid0(VALU_DEP_2) | instskip(SKIP_3) | instid1(VALU_DEP_3)
	v_cndmask_b32_e64 v18, v28, v18, s2
	v_cndmask_b32_e32 v22, v27, v24, vcc_lo
	v_add_co_u32 v24, vcc_lo, v20, 1
	v_add_co_ci_u32_e32 v27, vcc_lo, 0, v21, vcc_lo
	v_cmp_ne_u32_e32 vcc_lo, 0, v22
	s_delay_alu instid0(VALU_DEP_2) | instskip(SKIP_2) | instid1(VALU_DEP_3)
	v_dual_cndmask_b32 v19, v27, v26 :: v_dual_cndmask_b32 v22, v24, v23
	v_cmp_ne_u32_e32 vcc_lo, 0, v18
	v_xor_b32_e32 v18, s6, v25
	v_dual_cndmask_b32 v20, v20, v22 :: v_dual_cndmask_b32 v19, v21, v19
	v_xor_b32_e32 v21, s7, v25
	s_delay_alu instid0(VALU_DEP_2) | instskip(NEXT) | instid1(VALU_DEP_2)
	v_xor_b32_e32 v20, v20, v18
	v_xor_b32_e32 v19, v19, v21
	s_delay_alu instid0(VALU_DEP_2) | instskip(NEXT) | instid1(VALU_DEP_2)
	v_sub_co_u32 v18, vcc_lo, v20, v18
	v_sub_co_ci_u32_e32 v19, vcc_lo, v19, v21, vcc_lo
.LBB12_16:
	s_and_not1_saveexec_b32 s2, s3
	s_cbranch_execz .LBB12_18
; %bb.17:
	v_cvt_f32_u32_e32 v18, s10
	s_sub_i32 s3, 0, s10
	s_delay_alu instid0(VALU_DEP_1) | instskip(SKIP_2) | instid1(VALU_DEP_1)
	v_rcp_iflag_f32_e32 v18, v18
	s_waitcnt_depctr 0xfff
	v_mul_f32_e32 v18, 0x4f7ffffe, v18
	v_cvt_u32_f32_e32 v18, v18
	s_delay_alu instid0(VALU_DEP_1) | instskip(NEXT) | instid1(VALU_DEP_1)
	v_mul_lo_u32 v19, s3, v18
	v_mul_hi_u32 v19, v18, v19
	s_delay_alu instid0(VALU_DEP_1) | instskip(NEXT) | instid1(VALU_DEP_1)
	v_add_nc_u32_e32 v18, v18, v19
	v_mul_hi_u32 v18, v16, v18
	s_delay_alu instid0(VALU_DEP_1) | instskip(SKIP_1) | instid1(VALU_DEP_2)
	v_mul_lo_u32 v19, v18, s10
	v_add_nc_u32_e32 v20, 1, v18
	v_sub_nc_u32_e32 v19, v16, v19
	s_delay_alu instid0(VALU_DEP_1) | instskip(SKIP_1) | instid1(VALU_DEP_2)
	v_subrev_nc_u32_e32 v21, s10, v19
	v_cmp_le_u32_e32 vcc_lo, s10, v19
	v_dual_cndmask_b32 v19, v19, v21 :: v_dual_cndmask_b32 v18, v18, v20
	s_delay_alu instid0(VALU_DEP_1) | instskip(NEXT) | instid1(VALU_DEP_2)
	v_cmp_le_u32_e32 vcc_lo, s10, v19
	v_dual_mov_b32 v19, 0 :: v_dual_add_nc_u32 v20, 1, v18
	s_delay_alu instid0(VALU_DEP_1)
	v_cndmask_b32_e32 v18, v18, v20, vcc_lo
.LBB12_18:
	s_or_b32 exec_lo, exec_lo, s2
	s_waitcnt lgkmcnt(0)
	s_load_b32 s2, s[4:5], 0x0
	s_waitcnt lgkmcnt(0)
	v_div_scale_f32 v20, null, s2, s2, 1.0
	s_delay_alu instid0(VALU_DEP_1) | instskip(SKIP_2) | instid1(VALU_DEP_1)
	v_rcp_f32_e32 v21, v20
	s_waitcnt_depctr 0xfff
	v_fma_f32 v22, -v20, v21, 1.0
	v_fmac_f32_e32 v21, v22, v21
	v_div_scale_f32 v22, vcc_lo, 1.0, s2, 1.0
	s_delay_alu instid0(VALU_DEP_1) | instskip(NEXT) | instid1(VALU_DEP_1)
	v_mul_f32_e32 v23, v22, v21
	v_fma_f32 v24, -v20, v23, v22
	s_delay_alu instid0(VALU_DEP_1) | instskip(NEXT) | instid1(VALU_DEP_1)
	v_fmac_f32_e32 v23, v24, v21
	v_fma_f32 v20, -v20, v23, v22
	s_delay_alu instid0(VALU_DEP_1) | instskip(NEXT) | instid1(VALU_DEP_1)
	v_div_fmas_f32 v20, v20, v21, v23
	v_div_fixup_f32 v24, v20, s2, 1.0
	s_mov_b32 s2, 0xc3e00000
	s_delay_alu instid0(VALU_DEP_1) | instskip(NEXT) | instid1(VALU_DEP_1)
	v_mul_f32_e32 v0, v0, v24
	v_maxmin_f32 v23, v0, s2, 0x43e00000
	v_mov_b32_e32 v21, 0
	s_mov_b32 s2, exec_lo
	s_delay_alu instid0(VALU_DEP_2) | instskip(SKIP_1) | instid1(VALU_DEP_3)
	v_and_b32_e32 v26, 0x7f800000, v23
	v_lshrrev_b32_e32 v25, 24, v23
	v_dual_mov_b32 v27, v21 :: v_dual_and_b32 v20, 0x7fffff, v23
	s_delay_alu instid0(VALU_DEP_2) | instskip(NEXT) | instid1(VALU_DEP_1)
	v_and_b32_e32 v0, 0x80, v25
	v_or_b32_e32 v22, 0x7e, v0
	s_delay_alu instid0(VALU_DEP_3)
	v_cmpx_ne_u64_e32 0x7f800000, v[26:27]
	s_xor_b32 s3, exec_lo, s2
	s_cbranch_execz .LBB12_34
; %bb.19:
	v_dual_mov_b32 v26, v21 :: v_dual_and_b32 v25, 0x7fffffff, v23
	s_mov_b32 s2, exec_lo
	s_delay_alu instid0(VALU_DEP_1)
	v_cmpx_gt_u64_e32 0x43e00001, v[25:26]
	s_xor_b32 s4, exec_lo, s2
	s_cbranch_execz .LBB12_33
; %bb.20:
	v_mov_b32_e32 v22, 0
	s_mov_b32 s5, exec_lo
	v_cmpx_ne_u32_e32 0, v23
	s_cbranch_execz .LBB12_32
; %bb.21:
	v_bfe_u32 v25, v23, 23, 8
	v_or_b32_e32 v27, 0x800000, v20
	s_delay_alu instid0(VALU_DEP_2) | instskip(SKIP_1) | instid1(VALU_DEP_2)
	v_sub_nc_u32_e32 v22, 0x79, v25
	v_cmp_gt_u32_e32 vcc_lo, 0x7a, v25
	v_cndmask_b32_e32 v22, 0, v22, vcc_lo
	v_cmp_eq_u32_e32 vcc_lo, 0, v25
	s_delay_alu instid0(VALU_DEP_2) | instskip(NEXT) | instid1(VALU_DEP_1)
	v_cndmask_b32_e64 v26, v22, 0x78, vcc_lo
	v_dual_cndmask_b32 v20, v27, v20 :: v_dual_add_nc_u32 v27, 19, v26
	v_add_nc_u32_e32 v22, 20, v26
	s_delay_alu instid0(VALU_DEP_1) | instskip(NEXT) | instid1(VALU_DEP_1)
	v_lshlrev_b64 v[22:23], v22, -1
	v_not_b32_e32 v29, v22
	s_delay_alu instid0(VALU_DEP_2) | instskip(SKIP_1) | instid1(VALU_DEP_3)
	v_not_b32_e32 v28, v23
	v_lshlrev_b64 v[22:23], v27, 1
	v_and_b32_e32 v27, v20, v29
	v_lshrrev_b64 v[20:21], v26, v[20:21]
	s_delay_alu instid0(VALU_DEP_4) | instskip(NEXT) | instid1(VALU_DEP_1)
	v_and_b32_e32 v28, 0, v28
	v_cmp_eq_u64_e64 s2, v[27:28], v[22:23]
	s_delay_alu instid0(VALU_DEP_3) | instskip(NEXT) | instid1(VALU_DEP_2)
	v_dual_mov_b32 v23, v21 :: v_dual_mov_b32 v22, v20
	s_and_saveexec_b32 s6, s2
; %bb.22:
	v_bfe_u32 v22, v20, 20, 1
	s_delay_alu instid0(VALU_DEP_1) | instskip(NEXT) | instid1(VALU_DEP_1)
	v_add_co_u32 v22, s2, v20, v22
	v_add_co_u32 v22, s2, v22, -1
; %bb.23:
	s_or_b32 exec_lo, exec_lo, s6
	v_add_nc_u32_e32 v23, 0xffffff81, v25
	v_lshrrev_b32_e32 v25, 23, v20
	s_mov_b32 s2, exec_lo
	s_delay_alu instid0(VALU_DEP_2) | instskip(NEXT) | instid1(VALU_DEP_1)
	v_cndmask_b32_e64 v23, v23, 0xffffff82, vcc_lo
	v_add3_u32 v25, v26, v23, v25
	v_and_b32_e32 v23, 0xfffff, v22
	s_delay_alu instid0(VALU_DEP_2) | instskip(NEXT) | instid1(VALU_DEP_2)
	v_add_nc_u32_e32 v22, 6, v25
	v_add_co_u32 v20, vcc_lo, v23, v20
	v_add_co_ci_u32_e32 v21, vcc_lo, 0, v21, vcc_lo
                                        ; implicit-def: $vgpr23
	s_delay_alu instid0(VALU_DEP_3)
	v_cmpx_ne_u32_e32 0, v22
	s_xor_b32 s2, exec_lo, s2
; %bb.24:
	s_delay_alu instid0(VALU_DEP_2) | instskip(SKIP_1) | instid1(VALU_DEP_1)
	v_cmp_lt_u64_e32 vcc_lo, 0xffffff, v[20:21]
	v_add_nc_u32_e32 v23, 7, v25
	v_cndmask_b32_e32 v23, v22, v23, vcc_lo
	v_cndmask_b32_e64 v22, 0, 1, vcc_lo
	s_delay_alu instid0(VALU_DEP_1)
	v_lshrrev_b64 v[20:21], v22, v[20:21]
; %bb.25:
	s_and_not1_saveexec_b32 s2, s2
; %bb.26:
	s_delay_alu instid0(VALU_DEP_1)
	v_bfe_u32 v23, v20, 23, 1
; %bb.27:
	s_or_b32 exec_lo, exec_lo, s2
	s_delay_alu instid0(VALU_DEP_2) | instskip(NEXT) | instid1(VALU_DEP_2)
	v_lshrrev_b64 v[20:21], 20, v[20:21]
	v_cmp_gt_i32_e32 vcc_lo, 16, v23
	v_cmp_ne_u32_e64 s2, 0, v23
                                        ; implicit-def: $vgpr22
	s_delay_alu instid0(VALU_DEP_3) | instskip(NEXT) | instid1(VALU_DEP_1)
	v_dual_cndmask_b32 v21, 0, v21 :: v_dual_cndmask_b32 v20, 7, v20
	v_cmp_ne_u64_e32 vcc_lo, 0, v[20:21]
	s_delay_alu instid0(VALU_DEP_3) | instskip(NEXT) | instid1(SALU_CYCLE_1)
	s_or_b32 s2, s2, vcc_lo
	s_and_saveexec_b32 s6, s2
	s_delay_alu instid0(SALU_CYCLE_1)
	s_xor_b32 s2, exec_lo, s6
; %bb.28:
	v_min_i32_e32 v21, 15, v23
	s_delay_alu instid0(VALU_DEP_1) | instskip(NEXT) | instid1(VALU_DEP_1)
	v_lshl_or_b32 v0, v21, 3, v0
	v_and_or_b32 v22, v20, 7, v0
                                        ; implicit-def: $vgpr0
; %bb.29:
	s_and_not1_saveexec_b32 s2, s2
; %bb.30:
	v_mov_b32_e32 v22, v0
; %bb.31:
	s_or_b32 exec_lo, exec_lo, s2
.LBB12_32:
	s_delay_alu instid0(SALU_CYCLE_1)
	s_or_b32 exec_lo, exec_lo, s5
.LBB12_33:
	s_and_not1_saveexec_b32 s2, s4
	s_delay_alu instid0(SALU_CYCLE_1)
	s_or_b32 exec_lo, exec_lo, s2
                                        ; implicit-def: $vgpr25
                                        ; implicit-def: $vgpr20_vgpr21
.LBB12_34:
	s_and_not1_saveexec_b32 s2, s3
; %bb.35:
	v_cmp_eq_u64_e32 vcc_lo, 0, v[20:21]
	v_or_b32_e32 v0, 0x7f, v25
	s_delay_alu instid0(VALU_DEP_1)
	v_cndmask_b32_e32 v22, v0, v22, vcc_lo
; %bb.36:
	s_or_b32 exec_lo, exec_lo, s2
	v_dual_mul_f32 v0, v1, v24 :: v_dual_mov_b32 v1, 0
	s_mov_b32 s2, 0xc3e00000
	s_delay_alu instid0(VALU_DEP_1) | instid1(SALU_CYCLE_1)
	v_maxmin_f32 v20, v0, s2, 0x43e00000
	s_mov_b32 s2, exec_lo
	s_delay_alu instid0(VALU_DEP_2) | instskip(NEXT) | instid1(VALU_DEP_2)
	v_mov_b32_e32 v27, v1
	v_lshrrev_b32_e32 v21, 24, v20
	v_and_b32_e32 v26, 0x7f800000, v20
	v_and_b32_e32 v0, 0x7fffff, v20
	s_delay_alu instid0(VALU_DEP_3) | instskip(NEXT) | instid1(VALU_DEP_1)
	v_and_b32_e32 v25, 0x80, v21
	v_or_b32_e32 v23, 0x7e, v25
	s_delay_alu instid0(VALU_DEP_4)
	v_cmpx_ne_u64_e32 0x7f800000, v[26:27]
	s_xor_b32 s3, exec_lo, s2
	s_cbranch_execz .LBB12_52
; %bb.37:
	v_dual_mov_b32 v27, v1 :: v_dual_and_b32 v26, 0x7fffffff, v20
	s_mov_b32 s2, exec_lo
	s_delay_alu instid0(VALU_DEP_1)
	v_cmpx_gt_u64_e32 0x43e00001, v[26:27]
	s_xor_b32 s4, exec_lo, s2
	s_cbranch_execz .LBB12_51
; %bb.38:
	v_mov_b32_e32 v23, 0
	s_mov_b32 s5, exec_lo
	v_cmpx_ne_u32_e32 0, v20
	s_cbranch_execz .LBB12_50
; %bb.39:
	v_bfe_u32 v23, v20, 23, 8
	v_or_b32_e32 v27, 0x800000, v0
	s_delay_alu instid0(VALU_DEP_2) | instskip(SKIP_1) | instid1(VALU_DEP_2)
	v_sub_nc_u32_e32 v20, 0x79, v23
	v_cmp_gt_u32_e32 vcc_lo, 0x7a, v23
	v_cndmask_b32_e32 v20, 0, v20, vcc_lo
	v_cmp_eq_u32_e32 vcc_lo, 0, v23
	s_delay_alu instid0(VALU_DEP_2) | instskip(NEXT) | instid1(VALU_DEP_1)
	v_cndmask_b32_e64 v26, v20, 0x78, vcc_lo
	v_dual_cndmask_b32 v0, v27, v0 :: v_dual_add_nc_u32 v27, 19, v26
	v_add_nc_u32_e32 v20, 20, v26
	s_delay_alu instid0(VALU_DEP_1) | instskip(NEXT) | instid1(VALU_DEP_1)
	v_lshlrev_b64 v[20:21], v20, -1
	v_not_b32_e32 v29, v20
	s_delay_alu instid0(VALU_DEP_2) | instskip(SKIP_1) | instid1(VALU_DEP_3)
	v_not_b32_e32 v28, v21
	v_lshlrev_b64 v[20:21], v27, 1
	v_and_b32_e32 v27, v0, v29
	v_lshrrev_b64 v[0:1], v26, v[0:1]
	s_delay_alu instid0(VALU_DEP_4) | instskip(NEXT) | instid1(VALU_DEP_1)
	v_and_b32_e32 v28, 0, v28
	v_cmp_eq_u64_e64 s2, v[27:28], v[20:21]
	s_delay_alu instid0(VALU_DEP_3) | instskip(NEXT) | instid1(VALU_DEP_2)
	v_dual_mov_b32 v21, v1 :: v_dual_mov_b32 v20, v0
	s_and_saveexec_b32 s6, s2
; %bb.40:
	v_bfe_u32 v20, v0, 20, 1
	s_delay_alu instid0(VALU_DEP_1) | instskip(NEXT) | instid1(VALU_DEP_1)
	v_add_co_u32 v20, s2, v0, v20
	v_add_co_u32 v20, s2, v20, -1
; %bb.41:
	s_or_b32 exec_lo, exec_lo, s6
	v_add_nc_u32_e32 v21, 0xffffff81, v23
	v_lshrrev_b32_e32 v23, 23, v0
	s_delay_alu instid0(VALU_DEP_3) | instskip(SKIP_1) | instid1(VALU_DEP_3)
	v_and_b32_e32 v20, 0xfffff, v20
	s_mov_b32 s2, exec_lo
	v_cndmask_b32_e64 v21, v21, 0xffffff82, vcc_lo
	s_delay_alu instid0(VALU_DEP_2) | instskip(SKIP_1) | instid1(VALU_DEP_3)
	v_add_co_u32 v0, vcc_lo, v20, v0
	v_add_co_ci_u32_e32 v1, vcc_lo, 0, v1, vcc_lo
	v_add3_u32 v21, v26, v21, v23
                                        ; implicit-def: $vgpr20
	s_delay_alu instid0(VALU_DEP_1) | instskip(NEXT) | instid1(VALU_DEP_1)
	v_add_nc_u32_e32 v23, 6, v21
	v_cmpx_ne_u32_e32 0, v23
	s_xor_b32 s2, exec_lo, s2
; %bb.42:
	v_cmp_lt_u64_e32 vcc_lo, 0xffffff, v[0:1]
	v_add_nc_u32_e32 v20, 7, v21
	v_cndmask_b32_e64 v21, 0, 1, vcc_lo
	s_delay_alu instid0(VALU_DEP_2) | instskip(NEXT) | instid1(VALU_DEP_2)
	v_cndmask_b32_e32 v20, v23, v20, vcc_lo
	v_lshrrev_b64 v[0:1], v21, v[0:1]
; %bb.43:
	s_and_not1_saveexec_b32 s2, s2
; %bb.44:
	s_delay_alu instid0(VALU_DEP_1)
	v_bfe_u32 v20, v0, 23, 1
; %bb.45:
	s_or_b32 exec_lo, exec_lo, s2
	s_delay_alu instid0(VALU_DEP_2) | instskip(NEXT) | instid1(VALU_DEP_2)
	v_lshrrev_b64 v[0:1], 20, v[0:1]
	v_cmp_gt_i32_e32 vcc_lo, 16, v20
	v_cmp_ne_u32_e64 s2, 0, v20
                                        ; implicit-def: $vgpr23
	s_delay_alu instid0(VALU_DEP_3) | instskip(NEXT) | instid1(VALU_DEP_1)
	v_dual_cndmask_b32 v1, 0, v1 :: v_dual_cndmask_b32 v0, 7, v0
	v_cmp_ne_u64_e32 vcc_lo, 0, v[0:1]
	s_delay_alu instid0(VALU_DEP_3) | instskip(NEXT) | instid1(SALU_CYCLE_1)
	s_or_b32 s2, s2, vcc_lo
	s_and_saveexec_b32 s6, s2
	s_delay_alu instid0(SALU_CYCLE_1)
	s_xor_b32 s2, exec_lo, s6
; %bb.46:
	v_min_i32_e32 v1, 15, v20
	s_delay_alu instid0(VALU_DEP_1) | instskip(NEXT) | instid1(VALU_DEP_1)
	v_lshl_or_b32 v1, v1, 3, v25
                                        ; implicit-def: $vgpr25
	v_and_or_b32 v23, v0, 7, v1
; %bb.47:
	s_and_not1_saveexec_b32 s2, s2
; %bb.48:
	v_mov_b32_e32 v23, v25
; %bb.49:
	s_or_b32 exec_lo, exec_lo, s2
.LBB12_50:
	s_delay_alu instid0(SALU_CYCLE_1)
	s_or_b32 exec_lo, exec_lo, s5
.LBB12_51:
	s_and_not1_saveexec_b32 s2, s4
	s_delay_alu instid0(SALU_CYCLE_1)
	s_or_b32 exec_lo, exec_lo, s2
                                        ; implicit-def: $vgpr21
                                        ; implicit-def: $vgpr0_vgpr1
.LBB12_52:
	s_and_not1_saveexec_b32 s2, s3
; %bb.53:
	v_cmp_eq_u64_e32 vcc_lo, 0, v[0:1]
	v_or_b32_e32 v20, 0x7f, v21
	s_delay_alu instid0(VALU_DEP_1)
	v_cndmask_b32_e32 v23, v20, v23, vcc_lo
; %bb.54:
	s_or_b32 exec_lo, exec_lo, s2
	v_dual_mul_f32 v0, v2, v24 :: v_dual_mov_b32 v1, 0
	s_mov_b32 s2, 0xc3e00000
	s_delay_alu instid0(VALU_DEP_1) | instid1(SALU_CYCLE_1)
	v_maxmin_f32 v21, v0, s2, 0x43e00000
	s_mov_b32 s2, exec_lo
	s_delay_alu instid0(VALU_DEP_2) | instskip(NEXT) | instid1(VALU_DEP_2)
	v_mov_b32_e32 v27, v1
	v_lshrrev_b32_e32 v25, 24, v21
	v_and_b32_e32 v26, 0x7f800000, v21
	v_and_b32_e32 v0, 0x7fffff, v21
	s_delay_alu instid0(VALU_DEP_3) | instskip(NEXT) | instid1(VALU_DEP_1)
	v_and_b32_e32 v2, 0x80, v25
	v_or_b32_e32 v20, 0x7e, v2
	s_delay_alu instid0(VALU_DEP_4)
	v_cmpx_ne_u64_e32 0x7f800000, v[26:27]
	s_xor_b32 s3, exec_lo, s2
	s_cbranch_execz .LBB12_70
; %bb.55:
	v_dual_mov_b32 v26, v1 :: v_dual_and_b32 v25, 0x7fffffff, v21
	s_mov_b32 s2, exec_lo
	s_delay_alu instid0(VALU_DEP_1)
	v_cmpx_gt_u64_e32 0x43e00001, v[25:26]
	s_xor_b32 s4, exec_lo, s2
	s_cbranch_execz .LBB12_69
; %bb.56:
	v_mov_b32_e32 v20, 0
	s_mov_b32 s5, exec_lo
	v_cmpx_ne_u32_e32 0, v21
	s_cbranch_execz .LBB12_68
; %bb.57:
	v_bfe_u32 v25, v21, 23, 8
	v_or_b32_e32 v27, 0x800000, v0
	s_delay_alu instid0(VALU_DEP_2) | instskip(SKIP_1) | instid1(VALU_DEP_2)
	v_sub_nc_u32_e32 v20, 0x79, v25
	v_cmp_gt_u32_e32 vcc_lo, 0x7a, v25
	v_cndmask_b32_e32 v20, 0, v20, vcc_lo
	v_cmp_eq_u32_e32 vcc_lo, 0, v25
	s_delay_alu instid0(VALU_DEP_2) | instskip(NEXT) | instid1(VALU_DEP_1)
	v_cndmask_b32_e64 v26, v20, 0x78, vcc_lo
	v_dual_cndmask_b32 v0, v27, v0 :: v_dual_add_nc_u32 v27, 19, v26
	v_add_nc_u32_e32 v20, 20, v26
	s_delay_alu instid0(VALU_DEP_1) | instskip(NEXT) | instid1(VALU_DEP_1)
	v_lshlrev_b64 v[20:21], v20, -1
	v_not_b32_e32 v29, v20
	s_delay_alu instid0(VALU_DEP_2) | instskip(SKIP_1) | instid1(VALU_DEP_3)
	v_not_b32_e32 v28, v21
	v_lshlrev_b64 v[20:21], v27, 1
	v_and_b32_e32 v27, v0, v29
	v_lshrrev_b64 v[0:1], v26, v[0:1]
	s_delay_alu instid0(VALU_DEP_4) | instskip(NEXT) | instid1(VALU_DEP_1)
	v_and_b32_e32 v28, 0, v28
	v_cmp_eq_u64_e64 s2, v[27:28], v[20:21]
	s_delay_alu instid0(VALU_DEP_3) | instskip(NEXT) | instid1(VALU_DEP_2)
	v_dual_mov_b32 v21, v1 :: v_dual_mov_b32 v20, v0
	s_and_saveexec_b32 s6, s2
; %bb.58:
	v_bfe_u32 v20, v0, 20, 1
	s_delay_alu instid0(VALU_DEP_1) | instskip(NEXT) | instid1(VALU_DEP_1)
	v_add_co_u32 v20, s2, v0, v20
	v_add_co_u32 v20, s2, v20, -1
; %bb.59:
	s_or_b32 exec_lo, exec_lo, s6
	v_add_nc_u32_e32 v21, 0xffffff81, v25
	v_lshrrev_b32_e32 v25, 23, v0
	s_mov_b32 s2, exec_lo
	s_delay_alu instid0(VALU_DEP_2) | instskip(NEXT) | instid1(VALU_DEP_1)
	v_cndmask_b32_e64 v21, v21, 0xffffff82, vcc_lo
	v_add3_u32 v25, v26, v21, v25
	v_and_b32_e32 v21, 0xfffff, v20
	s_delay_alu instid0(VALU_DEP_2) | instskip(NEXT) | instid1(VALU_DEP_2)
	v_add_nc_u32_e32 v20, 6, v25
	v_add_co_u32 v0, vcc_lo, v21, v0
	v_add_co_ci_u32_e32 v1, vcc_lo, 0, v1, vcc_lo
                                        ; implicit-def: $vgpr21
	s_delay_alu instid0(VALU_DEP_3)
	v_cmpx_ne_u32_e32 0, v20
	s_xor_b32 s2, exec_lo, s2
; %bb.60:
	s_delay_alu instid0(VALU_DEP_2) | instskip(SKIP_1) | instid1(VALU_DEP_1)
	v_cmp_lt_u64_e32 vcc_lo, 0xffffff, v[0:1]
	v_add_nc_u32_e32 v21, 7, v25
	v_cndmask_b32_e32 v21, v20, v21, vcc_lo
	v_cndmask_b32_e64 v20, 0, 1, vcc_lo
	s_delay_alu instid0(VALU_DEP_1)
	v_lshrrev_b64 v[0:1], v20, v[0:1]
; %bb.61:
	s_and_not1_saveexec_b32 s2, s2
; %bb.62:
	s_delay_alu instid0(VALU_DEP_1)
	v_bfe_u32 v21, v0, 23, 1
; %bb.63:
	s_or_b32 exec_lo, exec_lo, s2
	s_delay_alu instid0(VALU_DEP_2) | instskip(NEXT) | instid1(VALU_DEP_2)
	v_lshrrev_b64 v[0:1], 20, v[0:1]
	v_cmp_gt_i32_e32 vcc_lo, 16, v21
	v_cmp_ne_u32_e64 s2, 0, v21
                                        ; implicit-def: $vgpr20
	s_delay_alu instid0(VALU_DEP_3) | instskip(NEXT) | instid1(VALU_DEP_1)
	v_dual_cndmask_b32 v1, 0, v1 :: v_dual_cndmask_b32 v0, 7, v0
	v_cmp_ne_u64_e32 vcc_lo, 0, v[0:1]
	s_delay_alu instid0(VALU_DEP_3) | instskip(NEXT) | instid1(SALU_CYCLE_1)
	s_or_b32 s2, s2, vcc_lo
	s_and_saveexec_b32 s6, s2
	s_delay_alu instid0(SALU_CYCLE_1)
	s_xor_b32 s2, exec_lo, s6
; %bb.64:
	v_min_i32_e32 v1, 15, v21
	s_delay_alu instid0(VALU_DEP_1) | instskip(NEXT) | instid1(VALU_DEP_1)
	v_lshl_or_b32 v1, v1, 3, v2
                                        ; implicit-def: $vgpr2
	v_and_or_b32 v20, v0, 7, v1
; %bb.65:
	s_and_not1_saveexec_b32 s2, s2
; %bb.66:
	v_mov_b32_e32 v20, v2
; %bb.67:
	s_or_b32 exec_lo, exec_lo, s2
.LBB12_68:
	s_delay_alu instid0(SALU_CYCLE_1)
	s_or_b32 exec_lo, exec_lo, s5
.LBB12_69:
	s_and_not1_saveexec_b32 s2, s4
	s_delay_alu instid0(SALU_CYCLE_1)
	s_or_b32 exec_lo, exec_lo, s2
                                        ; implicit-def: $vgpr25
                                        ; implicit-def: $vgpr0_vgpr1
.LBB12_70:
	s_and_not1_saveexec_b32 s2, s3
; %bb.71:
	v_cmp_eq_u64_e32 vcc_lo, 0, v[0:1]
	v_or_b32_e32 v2, 0x7f, v25
	s_delay_alu instid0(VALU_DEP_1)
	v_cndmask_b32_e32 v20, v2, v20, vcc_lo
; %bb.72:
	s_or_b32 exec_lo, exec_lo, s2
	v_dual_mul_f32 v0, v3, v24 :: v_dual_mov_b32 v1, 0
	s_mov_b32 s2, 0xc3e00000
	s_delay_alu instid0(VALU_DEP_1) | instid1(SALU_CYCLE_1)
	v_maxmin_f32 v2, v0, s2, 0x43e00000
	s_mov_b32 s2, exec_lo
	s_delay_alu instid0(VALU_DEP_2) | instskip(NEXT) | instid1(VALU_DEP_2)
	v_mov_b32_e32 v27, v1
	v_lshrrev_b32_e32 v3, 24, v2
	v_and_b32_e32 v26, 0x7f800000, v2
	v_and_b32_e32 v0, 0x7fffff, v2
	s_delay_alu instid0(VALU_DEP_3) | instskip(NEXT) | instid1(VALU_DEP_1)
	v_and_b32_e32 v25, 0x80, v3
	v_or_b32_e32 v21, 0x7e, v25
	s_delay_alu instid0(VALU_DEP_4)
	v_cmpx_ne_u64_e32 0x7f800000, v[26:27]
	s_xor_b32 s3, exec_lo, s2
	s_cbranch_execz .LBB12_88
; %bb.73:
	v_dual_mov_b32 v27, v1 :: v_dual_and_b32 v26, 0x7fffffff, v2
	s_mov_b32 s2, exec_lo
	s_delay_alu instid0(VALU_DEP_1)
	v_cmpx_gt_u64_e32 0x43e00001, v[26:27]
	s_xor_b32 s4, exec_lo, s2
	s_cbranch_execz .LBB12_87
; %bb.74:
	v_mov_b32_e32 v21, 0
	s_mov_b32 s5, exec_lo
	v_cmpx_ne_u32_e32 0, v2
	s_cbranch_execz .LBB12_86
; %bb.75:
	v_bfe_u32 v21, v2, 23, 8
	v_or_b32_e32 v27, 0x800000, v0
	s_delay_alu instid0(VALU_DEP_2) | instskip(SKIP_1) | instid1(VALU_DEP_2)
	v_sub_nc_u32_e32 v2, 0x79, v21
	v_cmp_gt_u32_e32 vcc_lo, 0x7a, v21
	v_cndmask_b32_e32 v2, 0, v2, vcc_lo
	v_cmp_eq_u32_e32 vcc_lo, 0, v21
	s_delay_alu instid0(VALU_DEP_2) | instskip(NEXT) | instid1(VALU_DEP_1)
	v_cndmask_b32_e64 v26, v2, 0x78, vcc_lo
	v_dual_cndmask_b32 v0, v27, v0 :: v_dual_add_nc_u32 v27, 19, v26
	v_add_nc_u32_e32 v2, 20, v26
	s_delay_alu instid0(VALU_DEP_1) | instskip(NEXT) | instid1(VALU_DEP_1)
	v_lshlrev_b64 v[2:3], v2, -1
	v_not_b32_e32 v29, v2
	s_delay_alu instid0(VALU_DEP_2) | instskip(SKIP_1) | instid1(VALU_DEP_3)
	v_not_b32_e32 v28, v3
	v_lshlrev_b64 v[2:3], v27, 1
	v_and_b32_e32 v27, v0, v29
	v_lshrrev_b64 v[0:1], v26, v[0:1]
	s_delay_alu instid0(VALU_DEP_4) | instskip(NEXT) | instid1(VALU_DEP_1)
	v_and_b32_e32 v28, 0, v28
	v_cmp_eq_u64_e64 s2, v[27:28], v[2:3]
	s_delay_alu instid0(VALU_DEP_3) | instskip(NEXT) | instid1(VALU_DEP_2)
	v_dual_mov_b32 v3, v1 :: v_dual_mov_b32 v2, v0
	s_and_saveexec_b32 s6, s2
; %bb.76:
	v_bfe_u32 v2, v0, 20, 1
	s_delay_alu instid0(VALU_DEP_1) | instskip(NEXT) | instid1(VALU_DEP_1)
	v_add_co_u32 v2, s2, v0, v2
	v_add_co_u32 v2, s2, v2, -1
; %bb.77:
	s_or_b32 exec_lo, exec_lo, s6
	v_add_nc_u32_e32 v3, 0xffffff81, v21
	v_lshrrev_b32_e32 v21, 23, v0
	s_delay_alu instid0(VALU_DEP_3) | instskip(SKIP_1) | instid1(VALU_DEP_3)
	v_and_b32_e32 v2, 0xfffff, v2
	s_mov_b32 s2, exec_lo
	v_cndmask_b32_e64 v3, v3, 0xffffff82, vcc_lo
	s_delay_alu instid0(VALU_DEP_2) | instskip(SKIP_1) | instid1(VALU_DEP_3)
	v_add_co_u32 v0, vcc_lo, v2, v0
	v_add_co_ci_u32_e32 v1, vcc_lo, 0, v1, vcc_lo
	v_add3_u32 v3, v26, v3, v21
                                        ; implicit-def: $vgpr2
	s_delay_alu instid0(VALU_DEP_1) | instskip(NEXT) | instid1(VALU_DEP_1)
	v_add_nc_u32_e32 v21, 6, v3
	v_cmpx_ne_u32_e32 0, v21
	s_xor_b32 s2, exec_lo, s2
; %bb.78:
	v_cmp_lt_u64_e32 vcc_lo, 0xffffff, v[0:1]
	v_add_nc_u32_e32 v2, 7, v3
	v_cndmask_b32_e64 v3, 0, 1, vcc_lo
	s_delay_alu instid0(VALU_DEP_2) | instskip(NEXT) | instid1(VALU_DEP_2)
	v_cndmask_b32_e32 v2, v21, v2, vcc_lo
	v_lshrrev_b64 v[0:1], v3, v[0:1]
; %bb.79:
	s_and_not1_saveexec_b32 s2, s2
; %bb.80:
	s_delay_alu instid0(VALU_DEP_1)
	v_bfe_u32 v2, v0, 23, 1
; %bb.81:
	s_or_b32 exec_lo, exec_lo, s2
	s_delay_alu instid0(VALU_DEP_2) | instskip(NEXT) | instid1(VALU_DEP_2)
	v_lshrrev_b64 v[0:1], 20, v[0:1]
	v_cmp_gt_i32_e32 vcc_lo, 16, v2
	v_cmp_ne_u32_e64 s2, 0, v2
                                        ; implicit-def: $vgpr21
	s_delay_alu instid0(VALU_DEP_3) | instskip(NEXT) | instid1(VALU_DEP_1)
	v_dual_cndmask_b32 v1, 0, v1 :: v_dual_cndmask_b32 v0, 7, v0
	v_cmp_ne_u64_e32 vcc_lo, 0, v[0:1]
	s_delay_alu instid0(VALU_DEP_3) | instskip(NEXT) | instid1(SALU_CYCLE_1)
	s_or_b32 s2, s2, vcc_lo
	s_and_saveexec_b32 s6, s2
	s_delay_alu instid0(SALU_CYCLE_1)
	s_xor_b32 s2, exec_lo, s6
; %bb.82:
	v_min_i32_e32 v1, 15, v2
	s_delay_alu instid0(VALU_DEP_1) | instskip(NEXT) | instid1(VALU_DEP_1)
	v_lshl_or_b32 v1, v1, 3, v25
                                        ; implicit-def: $vgpr25
	v_and_or_b32 v21, v0, 7, v1
; %bb.83:
	s_and_not1_saveexec_b32 s2, s2
; %bb.84:
	v_mov_b32_e32 v21, v25
; %bb.85:
	s_or_b32 exec_lo, exec_lo, s2
.LBB12_86:
	s_delay_alu instid0(SALU_CYCLE_1)
	s_or_b32 exec_lo, exec_lo, s5
.LBB12_87:
	s_and_not1_saveexec_b32 s2, s4
	s_delay_alu instid0(SALU_CYCLE_1)
	s_or_b32 exec_lo, exec_lo, s2
                                        ; implicit-def: $vgpr3
                                        ; implicit-def: $vgpr0_vgpr1
.LBB12_88:
	s_and_not1_saveexec_b32 s2, s3
; %bb.89:
	v_cmp_eq_u64_e32 vcc_lo, 0, v[0:1]
	v_or_b32_e32 v2, 0x7f, v3
	s_delay_alu instid0(VALU_DEP_1)
	v_cndmask_b32_e32 v21, v2, v21, vcc_lo
; %bb.90:
	s_or_b32 exec_lo, exec_lo, s2
	v_dual_mul_f32 v0, v4, v24 :: v_dual_mov_b32 v1, 0
	s_mov_b32 s2, 0xc3e00000
	s_delay_alu instid0(VALU_DEP_1) | instid1(SALU_CYCLE_1)
	v_maxmin_f32 v2, v0, s2, 0x43e00000
	s_mov_b32 s2, exec_lo
	s_delay_alu instid0(VALU_DEP_2) | instskip(NEXT) | instid1(VALU_DEP_2)
	v_mov_b32_e32 v27, v1
	v_lshrrev_b32_e32 v3, 24, v2
	v_and_b32_e32 v26, 0x7f800000, v2
	v_and_b32_e32 v0, 0x7fffff, v2
	s_delay_alu instid0(VALU_DEP_3) | instskip(NEXT) | instid1(VALU_DEP_1)
	v_and_b32_e32 v25, 0x80, v3
	v_or_b32_e32 v4, 0x7e, v25
	s_delay_alu instid0(VALU_DEP_4)
	v_cmpx_ne_u64_e32 0x7f800000, v[26:27]
	s_xor_b32 s3, exec_lo, s2
	s_cbranch_execz .LBB12_106
; %bb.91:
	v_dual_mov_b32 v27, v1 :: v_dual_and_b32 v26, 0x7fffffff, v2
	s_mov_b32 s2, exec_lo
	s_delay_alu instid0(VALU_DEP_1)
	v_cmpx_gt_u64_e32 0x43e00001, v[26:27]
	s_xor_b32 s4, exec_lo, s2
	s_cbranch_execz .LBB12_105
; %bb.92:
	v_mov_b32_e32 v4, 0
	s_mov_b32 s5, exec_lo
	v_cmpx_ne_u32_e32 0, v2
	s_cbranch_execz .LBB12_104
; %bb.93:
	v_bfe_u32 v4, v2, 23, 8
	v_or_b32_e32 v27, 0x800000, v0
	s_delay_alu instid0(VALU_DEP_2) | instskip(SKIP_1) | instid1(VALU_DEP_2)
	v_sub_nc_u32_e32 v2, 0x79, v4
	v_cmp_gt_u32_e32 vcc_lo, 0x7a, v4
	v_cndmask_b32_e32 v2, 0, v2, vcc_lo
	v_cmp_eq_u32_e32 vcc_lo, 0, v4
	s_delay_alu instid0(VALU_DEP_2) | instskip(NEXT) | instid1(VALU_DEP_1)
	v_cndmask_b32_e64 v26, v2, 0x78, vcc_lo
	v_dual_cndmask_b32 v0, v27, v0 :: v_dual_add_nc_u32 v27, 19, v26
	v_add_nc_u32_e32 v2, 20, v26
	s_delay_alu instid0(VALU_DEP_1) | instskip(NEXT) | instid1(VALU_DEP_1)
	v_lshlrev_b64 v[2:3], v2, -1
	v_not_b32_e32 v29, v2
	s_delay_alu instid0(VALU_DEP_2) | instskip(SKIP_1) | instid1(VALU_DEP_3)
	v_not_b32_e32 v28, v3
	v_lshlrev_b64 v[2:3], v27, 1
	v_and_b32_e32 v27, v0, v29
	v_lshrrev_b64 v[0:1], v26, v[0:1]
	s_delay_alu instid0(VALU_DEP_4) | instskip(NEXT) | instid1(VALU_DEP_1)
	v_and_b32_e32 v28, 0, v28
	v_cmp_eq_u64_e64 s2, v[27:28], v[2:3]
	s_delay_alu instid0(VALU_DEP_3) | instskip(NEXT) | instid1(VALU_DEP_2)
	v_dual_mov_b32 v3, v1 :: v_dual_mov_b32 v2, v0
	s_and_saveexec_b32 s6, s2
; %bb.94:
	v_bfe_u32 v2, v0, 20, 1
	s_delay_alu instid0(VALU_DEP_1) | instskip(NEXT) | instid1(VALU_DEP_1)
	v_add_co_u32 v2, s2, v0, v2
	v_add_co_u32 v2, s2, v2, -1
; %bb.95:
	s_or_b32 exec_lo, exec_lo, s6
	v_add_nc_u32_e32 v3, 0xffffff81, v4
	v_lshrrev_b32_e32 v4, 23, v0
	s_delay_alu instid0(VALU_DEP_3) | instskip(SKIP_1) | instid1(VALU_DEP_3)
	v_and_b32_e32 v2, 0xfffff, v2
	s_mov_b32 s2, exec_lo
	v_cndmask_b32_e64 v3, v3, 0xffffff82, vcc_lo
	s_delay_alu instid0(VALU_DEP_2) | instskip(SKIP_1) | instid1(VALU_DEP_3)
	v_add_co_u32 v0, vcc_lo, v2, v0
	v_add_co_ci_u32_e32 v1, vcc_lo, 0, v1, vcc_lo
	v_add3_u32 v3, v26, v3, v4
                                        ; implicit-def: $vgpr2
	s_delay_alu instid0(VALU_DEP_1) | instskip(NEXT) | instid1(VALU_DEP_1)
	v_add_nc_u32_e32 v4, 6, v3
	v_cmpx_ne_u32_e32 0, v4
	s_xor_b32 s2, exec_lo, s2
; %bb.96:
	v_cmp_lt_u64_e32 vcc_lo, 0xffffff, v[0:1]
	v_add_nc_u32_e32 v2, 7, v3
	v_cndmask_b32_e64 v3, 0, 1, vcc_lo
	s_delay_alu instid0(VALU_DEP_2) | instskip(NEXT) | instid1(VALU_DEP_2)
	v_cndmask_b32_e32 v2, v4, v2, vcc_lo
	v_lshrrev_b64 v[0:1], v3, v[0:1]
; %bb.97:
	s_and_not1_saveexec_b32 s2, s2
; %bb.98:
	s_delay_alu instid0(VALU_DEP_1)
	v_bfe_u32 v2, v0, 23, 1
; %bb.99:
	s_or_b32 exec_lo, exec_lo, s2
	s_delay_alu instid0(VALU_DEP_2) | instskip(NEXT) | instid1(VALU_DEP_2)
	v_lshrrev_b64 v[0:1], 20, v[0:1]
	v_cmp_gt_i32_e32 vcc_lo, 16, v2
	v_cmp_ne_u32_e64 s2, 0, v2
                                        ; implicit-def: $vgpr4
	s_delay_alu instid0(VALU_DEP_3) | instskip(NEXT) | instid1(VALU_DEP_1)
	v_dual_cndmask_b32 v1, 0, v1 :: v_dual_cndmask_b32 v0, 7, v0
	v_cmp_ne_u64_e32 vcc_lo, 0, v[0:1]
	s_delay_alu instid0(VALU_DEP_3) | instskip(NEXT) | instid1(SALU_CYCLE_1)
	s_or_b32 s2, s2, vcc_lo
	s_and_saveexec_b32 s6, s2
	s_delay_alu instid0(SALU_CYCLE_1)
	s_xor_b32 s2, exec_lo, s6
; %bb.100:
	v_min_i32_e32 v1, 15, v2
	s_delay_alu instid0(VALU_DEP_1) | instskip(NEXT) | instid1(VALU_DEP_1)
	v_lshl_or_b32 v1, v1, 3, v25
                                        ; implicit-def: $vgpr25
	v_and_or_b32 v4, v0, 7, v1
; %bb.101:
	s_and_not1_saveexec_b32 s2, s2
; %bb.102:
	v_mov_b32_e32 v4, v25
; %bb.103:
	s_or_b32 exec_lo, exec_lo, s2
.LBB12_104:
	s_delay_alu instid0(SALU_CYCLE_1)
	s_or_b32 exec_lo, exec_lo, s5
.LBB12_105:
	s_and_not1_saveexec_b32 s2, s4
	s_delay_alu instid0(SALU_CYCLE_1)
	s_or_b32 exec_lo, exec_lo, s2
                                        ; implicit-def: $vgpr3
                                        ; implicit-def: $vgpr0_vgpr1
.LBB12_106:
	s_and_not1_saveexec_b32 s2, s3
; %bb.107:
	v_cmp_eq_u64_e32 vcc_lo, 0, v[0:1]
	v_or_b32_e32 v2, 0x7f, v3
	s_delay_alu instid0(VALU_DEP_1)
	v_cndmask_b32_e32 v4, v2, v4, vcc_lo
; %bb.108:
	s_or_b32 exec_lo, exec_lo, s2
	v_dual_mul_f32 v0, v5, v24 :: v_dual_mov_b32 v1, 0
	s_mov_b32 s2, 0xc3e00000
	s_delay_alu instid0(VALU_DEP_1) | instid1(SALU_CYCLE_1)
	v_maxmin_f32 v2, v0, s2, 0x43e00000
	s_mov_b32 s2, exec_lo
	s_delay_alu instid0(VALU_DEP_2) | instskip(NEXT) | instid1(VALU_DEP_2)
	v_mov_b32_e32 v27, v1
	v_lshrrev_b32_e32 v3, 24, v2
	v_and_b32_e32 v26, 0x7f800000, v2
	v_and_b32_e32 v0, 0x7fffff, v2
	s_delay_alu instid0(VALU_DEP_3) | instskip(NEXT) | instid1(VALU_DEP_1)
	v_and_b32_e32 v25, 0x80, v3
	v_or_b32_e32 v5, 0x7e, v25
	s_delay_alu instid0(VALU_DEP_4)
	v_cmpx_ne_u64_e32 0x7f800000, v[26:27]
	s_xor_b32 s3, exec_lo, s2
	s_cbranch_execz .LBB12_124
; %bb.109:
	v_dual_mov_b32 v27, v1 :: v_dual_and_b32 v26, 0x7fffffff, v2
	s_mov_b32 s2, exec_lo
	s_delay_alu instid0(VALU_DEP_1)
	v_cmpx_gt_u64_e32 0x43e00001, v[26:27]
	s_xor_b32 s4, exec_lo, s2
	s_cbranch_execz .LBB12_123
; %bb.110:
	v_mov_b32_e32 v5, 0
	s_mov_b32 s5, exec_lo
	v_cmpx_ne_u32_e32 0, v2
	s_cbranch_execz .LBB12_122
; %bb.111:
	v_bfe_u32 v5, v2, 23, 8
	v_or_b32_e32 v27, 0x800000, v0
	s_delay_alu instid0(VALU_DEP_2) | instskip(SKIP_1) | instid1(VALU_DEP_2)
	v_sub_nc_u32_e32 v2, 0x79, v5
	v_cmp_gt_u32_e32 vcc_lo, 0x7a, v5
	v_cndmask_b32_e32 v2, 0, v2, vcc_lo
	v_cmp_eq_u32_e32 vcc_lo, 0, v5
	s_delay_alu instid0(VALU_DEP_2) | instskip(NEXT) | instid1(VALU_DEP_1)
	v_cndmask_b32_e64 v26, v2, 0x78, vcc_lo
	v_dual_cndmask_b32 v0, v27, v0 :: v_dual_add_nc_u32 v27, 19, v26
	v_add_nc_u32_e32 v2, 20, v26
	s_delay_alu instid0(VALU_DEP_1) | instskip(NEXT) | instid1(VALU_DEP_1)
	v_lshlrev_b64 v[2:3], v2, -1
	v_not_b32_e32 v29, v2
	s_delay_alu instid0(VALU_DEP_2) | instskip(SKIP_1) | instid1(VALU_DEP_3)
	v_not_b32_e32 v28, v3
	v_lshlrev_b64 v[2:3], v27, 1
	v_and_b32_e32 v27, v0, v29
	v_lshrrev_b64 v[0:1], v26, v[0:1]
	s_delay_alu instid0(VALU_DEP_4) | instskip(NEXT) | instid1(VALU_DEP_1)
	v_and_b32_e32 v28, 0, v28
	v_cmp_eq_u64_e64 s2, v[27:28], v[2:3]
	s_delay_alu instid0(VALU_DEP_3) | instskip(NEXT) | instid1(VALU_DEP_2)
	v_dual_mov_b32 v3, v1 :: v_dual_mov_b32 v2, v0
	s_and_saveexec_b32 s6, s2
; %bb.112:
	v_bfe_u32 v2, v0, 20, 1
	s_delay_alu instid0(VALU_DEP_1) | instskip(NEXT) | instid1(VALU_DEP_1)
	v_add_co_u32 v2, s2, v0, v2
	v_add_co_u32 v2, s2, v2, -1
; %bb.113:
	s_or_b32 exec_lo, exec_lo, s6
	v_add_nc_u32_e32 v3, 0xffffff81, v5
	v_lshrrev_b32_e32 v5, 23, v0
	s_delay_alu instid0(VALU_DEP_3) | instskip(SKIP_1) | instid1(VALU_DEP_3)
	v_and_b32_e32 v2, 0xfffff, v2
	s_mov_b32 s2, exec_lo
	v_cndmask_b32_e64 v3, v3, 0xffffff82, vcc_lo
	s_delay_alu instid0(VALU_DEP_2) | instskip(SKIP_1) | instid1(VALU_DEP_3)
	v_add_co_u32 v0, vcc_lo, v2, v0
	v_add_co_ci_u32_e32 v1, vcc_lo, 0, v1, vcc_lo
	v_add3_u32 v3, v26, v3, v5
                                        ; implicit-def: $vgpr2
	s_delay_alu instid0(VALU_DEP_1) | instskip(NEXT) | instid1(VALU_DEP_1)
	v_add_nc_u32_e32 v5, 6, v3
	v_cmpx_ne_u32_e32 0, v5
	s_xor_b32 s2, exec_lo, s2
; %bb.114:
	v_cmp_lt_u64_e32 vcc_lo, 0xffffff, v[0:1]
	v_add_nc_u32_e32 v2, 7, v3
	v_cndmask_b32_e64 v3, 0, 1, vcc_lo
	s_delay_alu instid0(VALU_DEP_2) | instskip(NEXT) | instid1(VALU_DEP_2)
	v_cndmask_b32_e32 v2, v5, v2, vcc_lo
	v_lshrrev_b64 v[0:1], v3, v[0:1]
; %bb.115:
	s_and_not1_saveexec_b32 s2, s2
; %bb.116:
	s_delay_alu instid0(VALU_DEP_1)
	v_bfe_u32 v2, v0, 23, 1
; %bb.117:
	s_or_b32 exec_lo, exec_lo, s2
	s_delay_alu instid0(VALU_DEP_2) | instskip(NEXT) | instid1(VALU_DEP_2)
	v_lshrrev_b64 v[0:1], 20, v[0:1]
	v_cmp_gt_i32_e32 vcc_lo, 16, v2
	v_cmp_ne_u32_e64 s2, 0, v2
                                        ; implicit-def: $vgpr5
	s_delay_alu instid0(VALU_DEP_3) | instskip(NEXT) | instid1(VALU_DEP_1)
	v_dual_cndmask_b32 v1, 0, v1 :: v_dual_cndmask_b32 v0, 7, v0
	v_cmp_ne_u64_e32 vcc_lo, 0, v[0:1]
	s_delay_alu instid0(VALU_DEP_3) | instskip(NEXT) | instid1(SALU_CYCLE_1)
	s_or_b32 s2, s2, vcc_lo
	s_and_saveexec_b32 s6, s2
	s_delay_alu instid0(SALU_CYCLE_1)
	s_xor_b32 s2, exec_lo, s6
; %bb.118:
	v_min_i32_e32 v1, 15, v2
	s_delay_alu instid0(VALU_DEP_1) | instskip(NEXT) | instid1(VALU_DEP_1)
	v_lshl_or_b32 v1, v1, 3, v25
                                        ; implicit-def: $vgpr25
	v_and_or_b32 v5, v0, 7, v1
; %bb.119:
	s_and_not1_saveexec_b32 s2, s2
; %bb.120:
	v_mov_b32_e32 v5, v25
; %bb.121:
	s_or_b32 exec_lo, exec_lo, s2
.LBB12_122:
	s_delay_alu instid0(SALU_CYCLE_1)
	s_or_b32 exec_lo, exec_lo, s5
.LBB12_123:
	s_and_not1_saveexec_b32 s2, s4
	s_delay_alu instid0(SALU_CYCLE_1)
	s_or_b32 exec_lo, exec_lo, s2
                                        ; implicit-def: $vgpr3
                                        ; implicit-def: $vgpr0_vgpr1
.LBB12_124:
	s_and_not1_saveexec_b32 s2, s3
; %bb.125:
	v_cmp_eq_u64_e32 vcc_lo, 0, v[0:1]
	v_or_b32_e32 v2, 0x7f, v3
	s_delay_alu instid0(VALU_DEP_1)
	v_cndmask_b32_e32 v5, v2, v5, vcc_lo
; %bb.126:
	s_or_b32 exec_lo, exec_lo, s2
	v_dual_mul_f32 v0, v6, v24 :: v_dual_mov_b32 v1, 0
	s_mov_b32 s2, 0xc3e00000
	s_delay_alu instid0(VALU_DEP_1) | instid1(SALU_CYCLE_1)
	v_maxmin_f32 v2, v0, s2, 0x43e00000
	s_mov_b32 s2, exec_lo
	s_delay_alu instid0(VALU_DEP_2) | instskip(NEXT) | instid1(VALU_DEP_2)
	v_mov_b32_e32 v27, v1
	v_lshrrev_b32_e32 v3, 24, v2
	v_and_b32_e32 v26, 0x7f800000, v2
	v_and_b32_e32 v0, 0x7fffff, v2
	s_delay_alu instid0(VALU_DEP_3) | instskip(NEXT) | instid1(VALU_DEP_1)
	v_and_b32_e32 v25, 0x80, v3
	v_or_b32_e32 v6, 0x7e, v25
	s_delay_alu instid0(VALU_DEP_4)
	v_cmpx_ne_u64_e32 0x7f800000, v[26:27]
	s_xor_b32 s3, exec_lo, s2
	s_cbranch_execz .LBB12_142
; %bb.127:
	v_dual_mov_b32 v27, v1 :: v_dual_and_b32 v26, 0x7fffffff, v2
	s_mov_b32 s2, exec_lo
	s_delay_alu instid0(VALU_DEP_1)
	v_cmpx_gt_u64_e32 0x43e00001, v[26:27]
	s_xor_b32 s4, exec_lo, s2
	s_cbranch_execz .LBB12_141
; %bb.128:
	v_mov_b32_e32 v6, 0
	s_mov_b32 s5, exec_lo
	v_cmpx_ne_u32_e32 0, v2
	s_cbranch_execz .LBB12_140
; %bb.129:
	v_bfe_u32 v6, v2, 23, 8
	v_or_b32_e32 v27, 0x800000, v0
	s_delay_alu instid0(VALU_DEP_2) | instskip(SKIP_1) | instid1(VALU_DEP_2)
	v_sub_nc_u32_e32 v2, 0x79, v6
	v_cmp_gt_u32_e32 vcc_lo, 0x7a, v6
	v_cndmask_b32_e32 v2, 0, v2, vcc_lo
	v_cmp_eq_u32_e32 vcc_lo, 0, v6
	s_delay_alu instid0(VALU_DEP_2) | instskip(NEXT) | instid1(VALU_DEP_1)
	v_cndmask_b32_e64 v26, v2, 0x78, vcc_lo
	v_dual_cndmask_b32 v0, v27, v0 :: v_dual_add_nc_u32 v27, 19, v26
	v_add_nc_u32_e32 v2, 20, v26
	s_delay_alu instid0(VALU_DEP_1) | instskip(NEXT) | instid1(VALU_DEP_1)
	v_lshlrev_b64 v[2:3], v2, -1
	v_not_b32_e32 v29, v2
	s_delay_alu instid0(VALU_DEP_2) | instskip(SKIP_1) | instid1(VALU_DEP_3)
	v_not_b32_e32 v28, v3
	v_lshlrev_b64 v[2:3], v27, 1
	v_and_b32_e32 v27, v0, v29
	v_lshrrev_b64 v[0:1], v26, v[0:1]
	s_delay_alu instid0(VALU_DEP_4) | instskip(NEXT) | instid1(VALU_DEP_1)
	v_and_b32_e32 v28, 0, v28
	v_cmp_eq_u64_e64 s2, v[27:28], v[2:3]
	s_delay_alu instid0(VALU_DEP_3) | instskip(NEXT) | instid1(VALU_DEP_2)
	v_dual_mov_b32 v3, v1 :: v_dual_mov_b32 v2, v0
	s_and_saveexec_b32 s6, s2
; %bb.130:
	v_bfe_u32 v2, v0, 20, 1
	s_delay_alu instid0(VALU_DEP_1) | instskip(NEXT) | instid1(VALU_DEP_1)
	v_add_co_u32 v2, s2, v0, v2
	v_add_co_u32 v2, s2, v2, -1
; %bb.131:
	s_or_b32 exec_lo, exec_lo, s6
	v_add_nc_u32_e32 v3, 0xffffff81, v6
	v_lshrrev_b32_e32 v6, 23, v0
	s_delay_alu instid0(VALU_DEP_3) | instskip(SKIP_1) | instid1(VALU_DEP_3)
	v_and_b32_e32 v2, 0xfffff, v2
	s_mov_b32 s2, exec_lo
	v_cndmask_b32_e64 v3, v3, 0xffffff82, vcc_lo
	s_delay_alu instid0(VALU_DEP_2) | instskip(SKIP_1) | instid1(VALU_DEP_3)
	v_add_co_u32 v0, vcc_lo, v2, v0
	v_add_co_ci_u32_e32 v1, vcc_lo, 0, v1, vcc_lo
	v_add3_u32 v3, v26, v3, v6
                                        ; implicit-def: $vgpr2
	s_delay_alu instid0(VALU_DEP_1) | instskip(NEXT) | instid1(VALU_DEP_1)
	v_add_nc_u32_e32 v6, 6, v3
	v_cmpx_ne_u32_e32 0, v6
	s_xor_b32 s2, exec_lo, s2
; %bb.132:
	v_cmp_lt_u64_e32 vcc_lo, 0xffffff, v[0:1]
	v_add_nc_u32_e32 v2, 7, v3
	v_cndmask_b32_e64 v3, 0, 1, vcc_lo
	s_delay_alu instid0(VALU_DEP_2) | instskip(NEXT) | instid1(VALU_DEP_2)
	v_cndmask_b32_e32 v2, v6, v2, vcc_lo
	v_lshrrev_b64 v[0:1], v3, v[0:1]
; %bb.133:
	s_and_not1_saveexec_b32 s2, s2
; %bb.134:
	s_delay_alu instid0(VALU_DEP_1)
	v_bfe_u32 v2, v0, 23, 1
; %bb.135:
	s_or_b32 exec_lo, exec_lo, s2
	s_delay_alu instid0(VALU_DEP_2) | instskip(NEXT) | instid1(VALU_DEP_2)
	v_lshrrev_b64 v[0:1], 20, v[0:1]
	v_cmp_gt_i32_e32 vcc_lo, 16, v2
	v_cmp_ne_u32_e64 s2, 0, v2
                                        ; implicit-def: $vgpr6
	s_delay_alu instid0(VALU_DEP_3) | instskip(NEXT) | instid1(VALU_DEP_1)
	v_dual_cndmask_b32 v1, 0, v1 :: v_dual_cndmask_b32 v0, 7, v0
	v_cmp_ne_u64_e32 vcc_lo, 0, v[0:1]
	s_delay_alu instid0(VALU_DEP_3) | instskip(NEXT) | instid1(SALU_CYCLE_1)
	s_or_b32 s2, s2, vcc_lo
	s_and_saveexec_b32 s6, s2
	s_delay_alu instid0(SALU_CYCLE_1)
	s_xor_b32 s2, exec_lo, s6
; %bb.136:
	v_min_i32_e32 v1, 15, v2
	s_delay_alu instid0(VALU_DEP_1) | instskip(NEXT) | instid1(VALU_DEP_1)
	v_lshl_or_b32 v1, v1, 3, v25
                                        ; implicit-def: $vgpr25
	v_and_or_b32 v6, v0, 7, v1
; %bb.137:
	s_and_not1_saveexec_b32 s2, s2
; %bb.138:
	v_mov_b32_e32 v6, v25
; %bb.139:
	s_or_b32 exec_lo, exec_lo, s2
.LBB12_140:
	s_delay_alu instid0(SALU_CYCLE_1)
	s_or_b32 exec_lo, exec_lo, s5
.LBB12_141:
	s_and_not1_saveexec_b32 s2, s4
	s_delay_alu instid0(SALU_CYCLE_1)
	s_or_b32 exec_lo, exec_lo, s2
                                        ; implicit-def: $vgpr3
                                        ; implicit-def: $vgpr0_vgpr1
.LBB12_142:
	s_and_not1_saveexec_b32 s2, s3
; %bb.143:
	v_cmp_eq_u64_e32 vcc_lo, 0, v[0:1]
	v_or_b32_e32 v2, 0x7f, v3
	s_delay_alu instid0(VALU_DEP_1)
	v_cndmask_b32_e32 v6, v2, v6, vcc_lo
; %bb.144:
	s_or_b32 exec_lo, exec_lo, s2
	v_dual_mul_f32 v0, v7, v24 :: v_dual_mov_b32 v1, 0
	s_mov_b32 s2, 0xc3e00000
	s_delay_alu instid0(VALU_DEP_1) | instid1(SALU_CYCLE_1)
	v_maxmin_f32 v2, v0, s2, 0x43e00000
	s_mov_b32 s2, exec_lo
	s_delay_alu instid0(VALU_DEP_2) | instskip(NEXT) | instid1(VALU_DEP_2)
	v_mov_b32_e32 v27, v1
	v_lshrrev_b32_e32 v3, 24, v2
	v_and_b32_e32 v26, 0x7f800000, v2
	v_and_b32_e32 v0, 0x7fffff, v2
	s_delay_alu instid0(VALU_DEP_3) | instskip(NEXT) | instid1(VALU_DEP_1)
	v_and_b32_e32 v25, 0x80, v3
	v_or_b32_e32 v7, 0x7e, v25
	s_delay_alu instid0(VALU_DEP_4)
	v_cmpx_ne_u64_e32 0x7f800000, v[26:27]
	s_xor_b32 s3, exec_lo, s2
	s_cbranch_execz .LBB12_160
; %bb.145:
	v_dual_mov_b32 v27, v1 :: v_dual_and_b32 v26, 0x7fffffff, v2
	s_mov_b32 s2, exec_lo
	s_delay_alu instid0(VALU_DEP_1)
	v_cmpx_gt_u64_e32 0x43e00001, v[26:27]
	s_xor_b32 s4, exec_lo, s2
	s_cbranch_execz .LBB12_159
; %bb.146:
	v_mov_b32_e32 v7, 0
	s_mov_b32 s5, exec_lo
	v_cmpx_ne_u32_e32 0, v2
	s_cbranch_execz .LBB12_158
; %bb.147:
	v_bfe_u32 v7, v2, 23, 8
	v_or_b32_e32 v27, 0x800000, v0
	s_delay_alu instid0(VALU_DEP_2) | instskip(SKIP_1) | instid1(VALU_DEP_2)
	v_sub_nc_u32_e32 v2, 0x79, v7
	v_cmp_gt_u32_e32 vcc_lo, 0x7a, v7
	v_cndmask_b32_e32 v2, 0, v2, vcc_lo
	v_cmp_eq_u32_e32 vcc_lo, 0, v7
	s_delay_alu instid0(VALU_DEP_2) | instskip(NEXT) | instid1(VALU_DEP_1)
	v_cndmask_b32_e64 v26, v2, 0x78, vcc_lo
	v_dual_cndmask_b32 v0, v27, v0 :: v_dual_add_nc_u32 v27, 19, v26
	v_add_nc_u32_e32 v2, 20, v26
	s_delay_alu instid0(VALU_DEP_1) | instskip(NEXT) | instid1(VALU_DEP_1)
	v_lshlrev_b64 v[2:3], v2, -1
	v_not_b32_e32 v29, v2
	s_delay_alu instid0(VALU_DEP_2) | instskip(SKIP_1) | instid1(VALU_DEP_3)
	v_not_b32_e32 v28, v3
	v_lshlrev_b64 v[2:3], v27, 1
	v_and_b32_e32 v27, v0, v29
	v_lshrrev_b64 v[0:1], v26, v[0:1]
	s_delay_alu instid0(VALU_DEP_4) | instskip(NEXT) | instid1(VALU_DEP_1)
	v_and_b32_e32 v28, 0, v28
	v_cmp_eq_u64_e64 s2, v[27:28], v[2:3]
	s_delay_alu instid0(VALU_DEP_3) | instskip(NEXT) | instid1(VALU_DEP_2)
	v_dual_mov_b32 v3, v1 :: v_dual_mov_b32 v2, v0
	s_and_saveexec_b32 s6, s2
; %bb.148:
	v_bfe_u32 v2, v0, 20, 1
	s_delay_alu instid0(VALU_DEP_1) | instskip(NEXT) | instid1(VALU_DEP_1)
	v_add_co_u32 v2, s2, v0, v2
	v_add_co_u32 v2, s2, v2, -1
; %bb.149:
	s_or_b32 exec_lo, exec_lo, s6
	v_add_nc_u32_e32 v3, 0xffffff81, v7
	v_lshrrev_b32_e32 v7, 23, v0
	s_delay_alu instid0(VALU_DEP_3) | instskip(SKIP_1) | instid1(VALU_DEP_3)
	v_and_b32_e32 v2, 0xfffff, v2
	s_mov_b32 s2, exec_lo
	v_cndmask_b32_e64 v3, v3, 0xffffff82, vcc_lo
	s_delay_alu instid0(VALU_DEP_2) | instskip(SKIP_1) | instid1(VALU_DEP_3)
	v_add_co_u32 v0, vcc_lo, v2, v0
	v_add_co_ci_u32_e32 v1, vcc_lo, 0, v1, vcc_lo
	v_add3_u32 v3, v26, v3, v7
                                        ; implicit-def: $vgpr2
	s_delay_alu instid0(VALU_DEP_1) | instskip(NEXT) | instid1(VALU_DEP_1)
	v_add_nc_u32_e32 v7, 6, v3
	v_cmpx_ne_u32_e32 0, v7
	s_xor_b32 s2, exec_lo, s2
; %bb.150:
	v_cmp_lt_u64_e32 vcc_lo, 0xffffff, v[0:1]
	v_add_nc_u32_e32 v2, 7, v3
	v_cndmask_b32_e64 v3, 0, 1, vcc_lo
	s_delay_alu instid0(VALU_DEP_2) | instskip(NEXT) | instid1(VALU_DEP_2)
	v_cndmask_b32_e32 v2, v7, v2, vcc_lo
	v_lshrrev_b64 v[0:1], v3, v[0:1]
; %bb.151:
	s_and_not1_saveexec_b32 s2, s2
; %bb.152:
	s_delay_alu instid0(VALU_DEP_1)
	v_bfe_u32 v2, v0, 23, 1
; %bb.153:
	s_or_b32 exec_lo, exec_lo, s2
	s_delay_alu instid0(VALU_DEP_2) | instskip(NEXT) | instid1(VALU_DEP_2)
	v_lshrrev_b64 v[0:1], 20, v[0:1]
	v_cmp_gt_i32_e32 vcc_lo, 16, v2
	v_cmp_ne_u32_e64 s2, 0, v2
                                        ; implicit-def: $vgpr7
	s_delay_alu instid0(VALU_DEP_3) | instskip(NEXT) | instid1(VALU_DEP_1)
	v_dual_cndmask_b32 v1, 0, v1 :: v_dual_cndmask_b32 v0, 7, v0
	v_cmp_ne_u64_e32 vcc_lo, 0, v[0:1]
	s_delay_alu instid0(VALU_DEP_3) | instskip(NEXT) | instid1(SALU_CYCLE_1)
	s_or_b32 s2, s2, vcc_lo
	s_and_saveexec_b32 s6, s2
	s_delay_alu instid0(SALU_CYCLE_1)
	s_xor_b32 s2, exec_lo, s6
; %bb.154:
	v_min_i32_e32 v1, 15, v2
	s_delay_alu instid0(VALU_DEP_1) | instskip(NEXT) | instid1(VALU_DEP_1)
	v_lshl_or_b32 v1, v1, 3, v25
                                        ; implicit-def: $vgpr25
	v_and_or_b32 v7, v0, 7, v1
; %bb.155:
	s_and_not1_saveexec_b32 s2, s2
; %bb.156:
	v_mov_b32_e32 v7, v25
; %bb.157:
	s_or_b32 exec_lo, exec_lo, s2
.LBB12_158:
	s_delay_alu instid0(SALU_CYCLE_1)
	s_or_b32 exec_lo, exec_lo, s5
.LBB12_159:
	s_and_not1_saveexec_b32 s2, s4
	s_delay_alu instid0(SALU_CYCLE_1)
	s_or_b32 exec_lo, exec_lo, s2
                                        ; implicit-def: $vgpr3
                                        ; implicit-def: $vgpr0_vgpr1
.LBB12_160:
	s_and_not1_saveexec_b32 s2, s3
; %bb.161:
	v_cmp_eq_u64_e32 vcc_lo, 0, v[0:1]
	v_or_b32_e32 v2, 0x7f, v3
	s_delay_alu instid0(VALU_DEP_1)
	v_cndmask_b32_e32 v7, v2, v7, vcc_lo
; %bb.162:
	s_or_b32 exec_lo, exec_lo, s2
	v_dual_mul_f32 v0, v8, v24 :: v_dual_mov_b32 v1, 0
	s_mov_b32 s2, 0xc3e00000
	s_delay_alu instid0(VALU_DEP_1) | instid1(SALU_CYCLE_1)
	v_maxmin_f32 v2, v0, s2, 0x43e00000
	s_mov_b32 s2, exec_lo
	s_delay_alu instid0(VALU_DEP_2) | instskip(NEXT) | instid1(VALU_DEP_2)
	v_mov_b32_e32 v27, v1
	v_lshrrev_b32_e32 v3, 24, v2
	v_and_b32_e32 v26, 0x7f800000, v2
	v_and_b32_e32 v0, 0x7fffff, v2
	s_delay_alu instid0(VALU_DEP_3) | instskip(NEXT) | instid1(VALU_DEP_1)
	v_and_b32_e32 v25, 0x80, v3
	v_or_b32_e32 v8, 0x7e, v25
	s_delay_alu instid0(VALU_DEP_4)
	v_cmpx_ne_u64_e32 0x7f800000, v[26:27]
	s_xor_b32 s3, exec_lo, s2
	s_cbranch_execz .LBB12_178
; %bb.163:
	v_dual_mov_b32 v27, v1 :: v_dual_and_b32 v26, 0x7fffffff, v2
	s_mov_b32 s2, exec_lo
	s_delay_alu instid0(VALU_DEP_1)
	v_cmpx_gt_u64_e32 0x43e00001, v[26:27]
	s_xor_b32 s4, exec_lo, s2
	s_cbranch_execz .LBB12_177
; %bb.164:
	v_mov_b32_e32 v8, 0
	s_mov_b32 s5, exec_lo
	v_cmpx_ne_u32_e32 0, v2
	s_cbranch_execz .LBB12_176
; %bb.165:
	v_bfe_u32 v8, v2, 23, 8
	v_or_b32_e32 v27, 0x800000, v0
	s_delay_alu instid0(VALU_DEP_2) | instskip(SKIP_1) | instid1(VALU_DEP_2)
	v_sub_nc_u32_e32 v2, 0x79, v8
	v_cmp_gt_u32_e32 vcc_lo, 0x7a, v8
	v_cndmask_b32_e32 v2, 0, v2, vcc_lo
	v_cmp_eq_u32_e32 vcc_lo, 0, v8
	s_delay_alu instid0(VALU_DEP_2) | instskip(NEXT) | instid1(VALU_DEP_1)
	v_cndmask_b32_e64 v26, v2, 0x78, vcc_lo
	v_dual_cndmask_b32 v0, v27, v0 :: v_dual_add_nc_u32 v27, 19, v26
	v_add_nc_u32_e32 v2, 20, v26
	s_delay_alu instid0(VALU_DEP_1) | instskip(NEXT) | instid1(VALU_DEP_1)
	v_lshlrev_b64 v[2:3], v2, -1
	v_not_b32_e32 v29, v2
	s_delay_alu instid0(VALU_DEP_2) | instskip(SKIP_1) | instid1(VALU_DEP_3)
	v_not_b32_e32 v28, v3
	v_lshlrev_b64 v[2:3], v27, 1
	v_and_b32_e32 v27, v0, v29
	v_lshrrev_b64 v[0:1], v26, v[0:1]
	s_delay_alu instid0(VALU_DEP_4) | instskip(NEXT) | instid1(VALU_DEP_1)
	v_and_b32_e32 v28, 0, v28
	v_cmp_eq_u64_e64 s2, v[27:28], v[2:3]
	s_delay_alu instid0(VALU_DEP_3) | instskip(NEXT) | instid1(VALU_DEP_2)
	v_dual_mov_b32 v3, v1 :: v_dual_mov_b32 v2, v0
	s_and_saveexec_b32 s6, s2
; %bb.166:
	v_bfe_u32 v2, v0, 20, 1
	s_delay_alu instid0(VALU_DEP_1) | instskip(NEXT) | instid1(VALU_DEP_1)
	v_add_co_u32 v2, s2, v0, v2
	v_add_co_u32 v2, s2, v2, -1
; %bb.167:
	s_or_b32 exec_lo, exec_lo, s6
	v_add_nc_u32_e32 v3, 0xffffff81, v8
	v_lshrrev_b32_e32 v8, 23, v0
	s_delay_alu instid0(VALU_DEP_3) | instskip(SKIP_1) | instid1(VALU_DEP_3)
	v_and_b32_e32 v2, 0xfffff, v2
	s_mov_b32 s2, exec_lo
	v_cndmask_b32_e64 v3, v3, 0xffffff82, vcc_lo
	s_delay_alu instid0(VALU_DEP_2) | instskip(SKIP_1) | instid1(VALU_DEP_3)
	v_add_co_u32 v0, vcc_lo, v2, v0
	v_add_co_ci_u32_e32 v1, vcc_lo, 0, v1, vcc_lo
	v_add3_u32 v3, v26, v3, v8
                                        ; implicit-def: $vgpr2
	s_delay_alu instid0(VALU_DEP_1) | instskip(NEXT) | instid1(VALU_DEP_1)
	v_add_nc_u32_e32 v8, 6, v3
	v_cmpx_ne_u32_e32 0, v8
	s_xor_b32 s2, exec_lo, s2
; %bb.168:
	v_cmp_lt_u64_e32 vcc_lo, 0xffffff, v[0:1]
	v_add_nc_u32_e32 v2, 7, v3
	v_cndmask_b32_e64 v3, 0, 1, vcc_lo
	s_delay_alu instid0(VALU_DEP_2) | instskip(NEXT) | instid1(VALU_DEP_2)
	v_cndmask_b32_e32 v2, v8, v2, vcc_lo
	v_lshrrev_b64 v[0:1], v3, v[0:1]
; %bb.169:
	s_and_not1_saveexec_b32 s2, s2
; %bb.170:
	s_delay_alu instid0(VALU_DEP_1)
	v_bfe_u32 v2, v0, 23, 1
; %bb.171:
	s_or_b32 exec_lo, exec_lo, s2
	s_delay_alu instid0(VALU_DEP_2) | instskip(NEXT) | instid1(VALU_DEP_2)
	v_lshrrev_b64 v[0:1], 20, v[0:1]
	v_cmp_gt_i32_e32 vcc_lo, 16, v2
	v_cmp_ne_u32_e64 s2, 0, v2
                                        ; implicit-def: $vgpr8
	s_delay_alu instid0(VALU_DEP_3) | instskip(NEXT) | instid1(VALU_DEP_1)
	v_dual_cndmask_b32 v1, 0, v1 :: v_dual_cndmask_b32 v0, 7, v0
	v_cmp_ne_u64_e32 vcc_lo, 0, v[0:1]
	s_delay_alu instid0(VALU_DEP_3) | instskip(NEXT) | instid1(SALU_CYCLE_1)
	s_or_b32 s2, s2, vcc_lo
	s_and_saveexec_b32 s6, s2
	s_delay_alu instid0(SALU_CYCLE_1)
	s_xor_b32 s2, exec_lo, s6
; %bb.172:
	v_min_i32_e32 v1, 15, v2
	s_delay_alu instid0(VALU_DEP_1) | instskip(NEXT) | instid1(VALU_DEP_1)
	v_lshl_or_b32 v1, v1, 3, v25
                                        ; implicit-def: $vgpr25
	v_and_or_b32 v8, v0, 7, v1
; %bb.173:
	s_and_not1_saveexec_b32 s2, s2
; %bb.174:
	v_mov_b32_e32 v8, v25
; %bb.175:
	s_or_b32 exec_lo, exec_lo, s2
.LBB12_176:
	s_delay_alu instid0(SALU_CYCLE_1)
	s_or_b32 exec_lo, exec_lo, s5
.LBB12_177:
	s_and_not1_saveexec_b32 s2, s4
	s_delay_alu instid0(SALU_CYCLE_1)
	s_or_b32 exec_lo, exec_lo, s2
                                        ; implicit-def: $vgpr3
                                        ; implicit-def: $vgpr0_vgpr1
.LBB12_178:
	s_and_not1_saveexec_b32 s2, s3
; %bb.179:
	v_cmp_eq_u64_e32 vcc_lo, 0, v[0:1]
	v_or_b32_e32 v2, 0x7f, v3
	s_delay_alu instid0(VALU_DEP_1)
	v_cndmask_b32_e32 v8, v2, v8, vcc_lo
; %bb.180:
	s_or_b32 exec_lo, exec_lo, s2
	v_dual_mul_f32 v0, v9, v24 :: v_dual_mov_b32 v1, 0
	s_mov_b32 s2, 0xc3e00000
	s_delay_alu instid0(VALU_DEP_1) | instid1(SALU_CYCLE_1)
	v_maxmin_f32 v2, v0, s2, 0x43e00000
	s_mov_b32 s2, exec_lo
	s_delay_alu instid0(VALU_DEP_2) | instskip(NEXT) | instid1(VALU_DEP_2)
	v_mov_b32_e32 v27, v1
	v_lshrrev_b32_e32 v3, 24, v2
	v_and_b32_e32 v26, 0x7f800000, v2
	v_and_b32_e32 v0, 0x7fffff, v2
	s_delay_alu instid0(VALU_DEP_3) | instskip(NEXT) | instid1(VALU_DEP_1)
	v_and_b32_e32 v25, 0x80, v3
	v_or_b32_e32 v9, 0x7e, v25
	s_delay_alu instid0(VALU_DEP_4)
	v_cmpx_ne_u64_e32 0x7f800000, v[26:27]
	s_xor_b32 s3, exec_lo, s2
	s_cbranch_execz .LBB12_196
; %bb.181:
	v_dual_mov_b32 v27, v1 :: v_dual_and_b32 v26, 0x7fffffff, v2
	s_mov_b32 s2, exec_lo
	s_delay_alu instid0(VALU_DEP_1)
	v_cmpx_gt_u64_e32 0x43e00001, v[26:27]
	s_xor_b32 s4, exec_lo, s2
	s_cbranch_execz .LBB12_195
; %bb.182:
	v_mov_b32_e32 v9, 0
	s_mov_b32 s5, exec_lo
	v_cmpx_ne_u32_e32 0, v2
	s_cbranch_execz .LBB12_194
; %bb.183:
	v_bfe_u32 v9, v2, 23, 8
	v_or_b32_e32 v27, 0x800000, v0
	s_delay_alu instid0(VALU_DEP_2) | instskip(SKIP_1) | instid1(VALU_DEP_2)
	v_sub_nc_u32_e32 v2, 0x79, v9
	v_cmp_gt_u32_e32 vcc_lo, 0x7a, v9
	v_cndmask_b32_e32 v2, 0, v2, vcc_lo
	v_cmp_eq_u32_e32 vcc_lo, 0, v9
	s_delay_alu instid0(VALU_DEP_2) | instskip(NEXT) | instid1(VALU_DEP_1)
	v_cndmask_b32_e64 v26, v2, 0x78, vcc_lo
	v_dual_cndmask_b32 v0, v27, v0 :: v_dual_add_nc_u32 v27, 19, v26
	v_add_nc_u32_e32 v2, 20, v26
	s_delay_alu instid0(VALU_DEP_1) | instskip(NEXT) | instid1(VALU_DEP_1)
	v_lshlrev_b64 v[2:3], v2, -1
	v_not_b32_e32 v29, v2
	s_delay_alu instid0(VALU_DEP_2) | instskip(SKIP_1) | instid1(VALU_DEP_3)
	v_not_b32_e32 v28, v3
	v_lshlrev_b64 v[2:3], v27, 1
	v_and_b32_e32 v27, v0, v29
	v_lshrrev_b64 v[0:1], v26, v[0:1]
	s_delay_alu instid0(VALU_DEP_4) | instskip(NEXT) | instid1(VALU_DEP_1)
	v_and_b32_e32 v28, 0, v28
	v_cmp_eq_u64_e64 s2, v[27:28], v[2:3]
	s_delay_alu instid0(VALU_DEP_3) | instskip(NEXT) | instid1(VALU_DEP_2)
	v_dual_mov_b32 v3, v1 :: v_dual_mov_b32 v2, v0
	s_and_saveexec_b32 s6, s2
; %bb.184:
	v_bfe_u32 v2, v0, 20, 1
	s_delay_alu instid0(VALU_DEP_1) | instskip(NEXT) | instid1(VALU_DEP_1)
	v_add_co_u32 v2, s2, v0, v2
	v_add_co_u32 v2, s2, v2, -1
; %bb.185:
	s_or_b32 exec_lo, exec_lo, s6
	v_add_nc_u32_e32 v3, 0xffffff81, v9
	v_lshrrev_b32_e32 v9, 23, v0
	s_delay_alu instid0(VALU_DEP_3) | instskip(SKIP_1) | instid1(VALU_DEP_3)
	v_and_b32_e32 v2, 0xfffff, v2
	s_mov_b32 s2, exec_lo
	v_cndmask_b32_e64 v3, v3, 0xffffff82, vcc_lo
	s_delay_alu instid0(VALU_DEP_2) | instskip(SKIP_1) | instid1(VALU_DEP_3)
	v_add_co_u32 v0, vcc_lo, v2, v0
	v_add_co_ci_u32_e32 v1, vcc_lo, 0, v1, vcc_lo
	v_add3_u32 v3, v26, v3, v9
                                        ; implicit-def: $vgpr2
	s_delay_alu instid0(VALU_DEP_1) | instskip(NEXT) | instid1(VALU_DEP_1)
	v_add_nc_u32_e32 v9, 6, v3
	v_cmpx_ne_u32_e32 0, v9
	s_xor_b32 s2, exec_lo, s2
; %bb.186:
	v_cmp_lt_u64_e32 vcc_lo, 0xffffff, v[0:1]
	v_add_nc_u32_e32 v2, 7, v3
	v_cndmask_b32_e64 v3, 0, 1, vcc_lo
	s_delay_alu instid0(VALU_DEP_2) | instskip(NEXT) | instid1(VALU_DEP_2)
	v_cndmask_b32_e32 v2, v9, v2, vcc_lo
	v_lshrrev_b64 v[0:1], v3, v[0:1]
; %bb.187:
	s_and_not1_saveexec_b32 s2, s2
; %bb.188:
	s_delay_alu instid0(VALU_DEP_1)
	v_bfe_u32 v2, v0, 23, 1
; %bb.189:
	s_or_b32 exec_lo, exec_lo, s2
	s_delay_alu instid0(VALU_DEP_2) | instskip(NEXT) | instid1(VALU_DEP_2)
	v_lshrrev_b64 v[0:1], 20, v[0:1]
	v_cmp_gt_i32_e32 vcc_lo, 16, v2
	v_cmp_ne_u32_e64 s2, 0, v2
                                        ; implicit-def: $vgpr9
	s_delay_alu instid0(VALU_DEP_3) | instskip(NEXT) | instid1(VALU_DEP_1)
	v_dual_cndmask_b32 v1, 0, v1 :: v_dual_cndmask_b32 v0, 7, v0
	v_cmp_ne_u64_e32 vcc_lo, 0, v[0:1]
	s_delay_alu instid0(VALU_DEP_3) | instskip(NEXT) | instid1(SALU_CYCLE_1)
	s_or_b32 s2, s2, vcc_lo
	s_and_saveexec_b32 s6, s2
	s_delay_alu instid0(SALU_CYCLE_1)
	s_xor_b32 s2, exec_lo, s6
; %bb.190:
	v_min_i32_e32 v1, 15, v2
	s_delay_alu instid0(VALU_DEP_1) | instskip(NEXT) | instid1(VALU_DEP_1)
	v_lshl_or_b32 v1, v1, 3, v25
                                        ; implicit-def: $vgpr25
	v_and_or_b32 v9, v0, 7, v1
; %bb.191:
	s_and_not1_saveexec_b32 s2, s2
; %bb.192:
	v_mov_b32_e32 v9, v25
; %bb.193:
	s_or_b32 exec_lo, exec_lo, s2
.LBB12_194:
	s_delay_alu instid0(SALU_CYCLE_1)
	s_or_b32 exec_lo, exec_lo, s5
.LBB12_195:
	s_and_not1_saveexec_b32 s2, s4
	s_delay_alu instid0(SALU_CYCLE_1)
	s_or_b32 exec_lo, exec_lo, s2
                                        ; implicit-def: $vgpr3
                                        ; implicit-def: $vgpr0_vgpr1
.LBB12_196:
	s_and_not1_saveexec_b32 s2, s3
; %bb.197:
	v_cmp_eq_u64_e32 vcc_lo, 0, v[0:1]
	v_or_b32_e32 v2, 0x7f, v3
	s_delay_alu instid0(VALU_DEP_1)
	v_cndmask_b32_e32 v9, v2, v9, vcc_lo
; %bb.198:
	s_or_b32 exec_lo, exec_lo, s2
	v_dual_mul_f32 v0, v10, v24 :: v_dual_mov_b32 v1, 0
	s_mov_b32 s2, 0xc3e00000
	s_delay_alu instid0(VALU_DEP_1) | instid1(SALU_CYCLE_1)
	v_maxmin_f32 v2, v0, s2, 0x43e00000
	s_mov_b32 s2, exec_lo
	s_delay_alu instid0(VALU_DEP_2) | instskip(NEXT) | instid1(VALU_DEP_2)
	v_mov_b32_e32 v27, v1
	v_lshrrev_b32_e32 v3, 24, v2
	v_and_b32_e32 v26, 0x7f800000, v2
	v_and_b32_e32 v0, 0x7fffff, v2
	s_delay_alu instid0(VALU_DEP_3) | instskip(NEXT) | instid1(VALU_DEP_1)
	v_and_b32_e32 v25, 0x80, v3
	v_or_b32_e32 v10, 0x7e, v25
	s_delay_alu instid0(VALU_DEP_4)
	v_cmpx_ne_u64_e32 0x7f800000, v[26:27]
	s_xor_b32 s3, exec_lo, s2
	s_cbranch_execz .LBB12_214
; %bb.199:
	v_dual_mov_b32 v27, v1 :: v_dual_and_b32 v26, 0x7fffffff, v2
	s_mov_b32 s2, exec_lo
	s_delay_alu instid0(VALU_DEP_1)
	v_cmpx_gt_u64_e32 0x43e00001, v[26:27]
	s_xor_b32 s4, exec_lo, s2
	s_cbranch_execz .LBB12_213
; %bb.200:
	v_mov_b32_e32 v10, 0
	s_mov_b32 s5, exec_lo
	v_cmpx_ne_u32_e32 0, v2
	s_cbranch_execz .LBB12_212
; %bb.201:
	v_bfe_u32 v10, v2, 23, 8
	v_or_b32_e32 v27, 0x800000, v0
	s_delay_alu instid0(VALU_DEP_2) | instskip(SKIP_1) | instid1(VALU_DEP_2)
	v_sub_nc_u32_e32 v2, 0x79, v10
	v_cmp_gt_u32_e32 vcc_lo, 0x7a, v10
	v_cndmask_b32_e32 v2, 0, v2, vcc_lo
	v_cmp_eq_u32_e32 vcc_lo, 0, v10
	s_delay_alu instid0(VALU_DEP_2) | instskip(NEXT) | instid1(VALU_DEP_1)
	v_cndmask_b32_e64 v26, v2, 0x78, vcc_lo
	v_dual_cndmask_b32 v0, v27, v0 :: v_dual_add_nc_u32 v27, 19, v26
	v_add_nc_u32_e32 v2, 20, v26
	s_delay_alu instid0(VALU_DEP_1) | instskip(NEXT) | instid1(VALU_DEP_1)
	v_lshlrev_b64 v[2:3], v2, -1
	v_not_b32_e32 v29, v2
	s_delay_alu instid0(VALU_DEP_2) | instskip(SKIP_1) | instid1(VALU_DEP_3)
	v_not_b32_e32 v28, v3
	v_lshlrev_b64 v[2:3], v27, 1
	v_and_b32_e32 v27, v0, v29
	v_lshrrev_b64 v[0:1], v26, v[0:1]
	s_delay_alu instid0(VALU_DEP_4) | instskip(NEXT) | instid1(VALU_DEP_1)
	v_and_b32_e32 v28, 0, v28
	v_cmp_eq_u64_e64 s2, v[27:28], v[2:3]
	s_delay_alu instid0(VALU_DEP_3) | instskip(NEXT) | instid1(VALU_DEP_2)
	v_dual_mov_b32 v3, v1 :: v_dual_mov_b32 v2, v0
	s_and_saveexec_b32 s6, s2
; %bb.202:
	v_bfe_u32 v2, v0, 20, 1
	s_delay_alu instid0(VALU_DEP_1) | instskip(NEXT) | instid1(VALU_DEP_1)
	v_add_co_u32 v2, s2, v0, v2
	v_add_co_u32 v2, s2, v2, -1
; %bb.203:
	s_or_b32 exec_lo, exec_lo, s6
	v_add_nc_u32_e32 v3, 0xffffff81, v10
	v_lshrrev_b32_e32 v10, 23, v0
	s_delay_alu instid0(VALU_DEP_3) | instskip(SKIP_1) | instid1(VALU_DEP_3)
	v_and_b32_e32 v2, 0xfffff, v2
	s_mov_b32 s2, exec_lo
	v_cndmask_b32_e64 v3, v3, 0xffffff82, vcc_lo
	s_delay_alu instid0(VALU_DEP_2) | instskip(SKIP_1) | instid1(VALU_DEP_3)
	v_add_co_u32 v0, vcc_lo, v2, v0
	v_add_co_ci_u32_e32 v1, vcc_lo, 0, v1, vcc_lo
	v_add3_u32 v3, v26, v3, v10
                                        ; implicit-def: $vgpr2
	s_delay_alu instid0(VALU_DEP_1) | instskip(NEXT) | instid1(VALU_DEP_1)
	v_add_nc_u32_e32 v10, 6, v3
	v_cmpx_ne_u32_e32 0, v10
	s_xor_b32 s2, exec_lo, s2
; %bb.204:
	v_cmp_lt_u64_e32 vcc_lo, 0xffffff, v[0:1]
	v_add_nc_u32_e32 v2, 7, v3
	v_cndmask_b32_e64 v3, 0, 1, vcc_lo
	s_delay_alu instid0(VALU_DEP_2) | instskip(NEXT) | instid1(VALU_DEP_2)
	v_cndmask_b32_e32 v2, v10, v2, vcc_lo
	v_lshrrev_b64 v[0:1], v3, v[0:1]
; %bb.205:
	s_and_not1_saveexec_b32 s2, s2
; %bb.206:
	s_delay_alu instid0(VALU_DEP_1)
	v_bfe_u32 v2, v0, 23, 1
; %bb.207:
	s_or_b32 exec_lo, exec_lo, s2
	s_delay_alu instid0(VALU_DEP_2) | instskip(NEXT) | instid1(VALU_DEP_2)
	v_lshrrev_b64 v[0:1], 20, v[0:1]
	v_cmp_gt_i32_e32 vcc_lo, 16, v2
	v_cmp_ne_u32_e64 s2, 0, v2
                                        ; implicit-def: $vgpr10
	s_delay_alu instid0(VALU_DEP_3) | instskip(NEXT) | instid1(VALU_DEP_1)
	v_dual_cndmask_b32 v1, 0, v1 :: v_dual_cndmask_b32 v0, 7, v0
	v_cmp_ne_u64_e32 vcc_lo, 0, v[0:1]
	s_delay_alu instid0(VALU_DEP_3) | instskip(NEXT) | instid1(SALU_CYCLE_1)
	s_or_b32 s2, s2, vcc_lo
	s_and_saveexec_b32 s6, s2
	s_delay_alu instid0(SALU_CYCLE_1)
	s_xor_b32 s2, exec_lo, s6
; %bb.208:
	v_min_i32_e32 v1, 15, v2
	s_delay_alu instid0(VALU_DEP_1) | instskip(NEXT) | instid1(VALU_DEP_1)
	v_lshl_or_b32 v1, v1, 3, v25
                                        ; implicit-def: $vgpr25
	v_and_or_b32 v10, v0, 7, v1
; %bb.209:
	s_and_not1_saveexec_b32 s2, s2
; %bb.210:
	v_mov_b32_e32 v10, v25
; %bb.211:
	s_or_b32 exec_lo, exec_lo, s2
.LBB12_212:
	s_delay_alu instid0(SALU_CYCLE_1)
	s_or_b32 exec_lo, exec_lo, s5
.LBB12_213:
	s_and_not1_saveexec_b32 s2, s4
	s_delay_alu instid0(SALU_CYCLE_1)
	s_or_b32 exec_lo, exec_lo, s2
                                        ; implicit-def: $vgpr3
                                        ; implicit-def: $vgpr0_vgpr1
.LBB12_214:
	s_and_not1_saveexec_b32 s2, s3
; %bb.215:
	v_cmp_eq_u64_e32 vcc_lo, 0, v[0:1]
	v_or_b32_e32 v2, 0x7f, v3
	s_delay_alu instid0(VALU_DEP_1)
	v_cndmask_b32_e32 v10, v2, v10, vcc_lo
; %bb.216:
	s_or_b32 exec_lo, exec_lo, s2
	v_dual_mul_f32 v0, v11, v24 :: v_dual_mov_b32 v1, 0
	s_mov_b32 s2, 0xc3e00000
	s_delay_alu instid0(VALU_DEP_1) | instid1(SALU_CYCLE_1)
	v_maxmin_f32 v2, v0, s2, 0x43e00000
	s_mov_b32 s2, exec_lo
	s_delay_alu instid0(VALU_DEP_2) | instskip(NEXT) | instid1(VALU_DEP_2)
	v_mov_b32_e32 v27, v1
	v_lshrrev_b32_e32 v3, 24, v2
	v_and_b32_e32 v26, 0x7f800000, v2
	v_and_b32_e32 v0, 0x7fffff, v2
	s_delay_alu instid0(VALU_DEP_3) | instskip(NEXT) | instid1(VALU_DEP_1)
	v_and_b32_e32 v25, 0x80, v3
	v_or_b32_e32 v11, 0x7e, v25
	s_delay_alu instid0(VALU_DEP_4)
	v_cmpx_ne_u64_e32 0x7f800000, v[26:27]
	s_xor_b32 s3, exec_lo, s2
	s_cbranch_execz .LBB12_232
; %bb.217:
	v_dual_mov_b32 v27, v1 :: v_dual_and_b32 v26, 0x7fffffff, v2
	s_mov_b32 s2, exec_lo
	s_delay_alu instid0(VALU_DEP_1)
	v_cmpx_gt_u64_e32 0x43e00001, v[26:27]
	s_xor_b32 s4, exec_lo, s2
	s_cbranch_execz .LBB12_231
; %bb.218:
	v_mov_b32_e32 v11, 0
	s_mov_b32 s5, exec_lo
	v_cmpx_ne_u32_e32 0, v2
	s_cbranch_execz .LBB12_230
; %bb.219:
	v_bfe_u32 v11, v2, 23, 8
	v_or_b32_e32 v27, 0x800000, v0
	s_delay_alu instid0(VALU_DEP_2) | instskip(SKIP_1) | instid1(VALU_DEP_2)
	v_sub_nc_u32_e32 v2, 0x79, v11
	v_cmp_gt_u32_e32 vcc_lo, 0x7a, v11
	v_cndmask_b32_e32 v2, 0, v2, vcc_lo
	v_cmp_eq_u32_e32 vcc_lo, 0, v11
	s_delay_alu instid0(VALU_DEP_2) | instskip(NEXT) | instid1(VALU_DEP_1)
	v_cndmask_b32_e64 v26, v2, 0x78, vcc_lo
	v_dual_cndmask_b32 v0, v27, v0 :: v_dual_add_nc_u32 v27, 19, v26
	v_add_nc_u32_e32 v2, 20, v26
	s_delay_alu instid0(VALU_DEP_1) | instskip(NEXT) | instid1(VALU_DEP_1)
	v_lshlrev_b64 v[2:3], v2, -1
	v_not_b32_e32 v29, v2
	s_delay_alu instid0(VALU_DEP_2) | instskip(SKIP_1) | instid1(VALU_DEP_3)
	v_not_b32_e32 v28, v3
	v_lshlrev_b64 v[2:3], v27, 1
	v_and_b32_e32 v27, v0, v29
	v_lshrrev_b64 v[0:1], v26, v[0:1]
	s_delay_alu instid0(VALU_DEP_4) | instskip(NEXT) | instid1(VALU_DEP_1)
	v_and_b32_e32 v28, 0, v28
	v_cmp_eq_u64_e64 s2, v[27:28], v[2:3]
	s_delay_alu instid0(VALU_DEP_3) | instskip(NEXT) | instid1(VALU_DEP_2)
	v_dual_mov_b32 v3, v1 :: v_dual_mov_b32 v2, v0
	s_and_saveexec_b32 s6, s2
; %bb.220:
	v_bfe_u32 v2, v0, 20, 1
	s_delay_alu instid0(VALU_DEP_1) | instskip(NEXT) | instid1(VALU_DEP_1)
	v_add_co_u32 v2, s2, v0, v2
	v_add_co_u32 v2, s2, v2, -1
; %bb.221:
	s_or_b32 exec_lo, exec_lo, s6
	v_add_nc_u32_e32 v3, 0xffffff81, v11
	v_lshrrev_b32_e32 v11, 23, v0
	s_delay_alu instid0(VALU_DEP_3) | instskip(SKIP_1) | instid1(VALU_DEP_3)
	v_and_b32_e32 v2, 0xfffff, v2
	s_mov_b32 s2, exec_lo
	v_cndmask_b32_e64 v3, v3, 0xffffff82, vcc_lo
	s_delay_alu instid0(VALU_DEP_2) | instskip(SKIP_1) | instid1(VALU_DEP_3)
	v_add_co_u32 v0, vcc_lo, v2, v0
	v_add_co_ci_u32_e32 v1, vcc_lo, 0, v1, vcc_lo
	v_add3_u32 v3, v26, v3, v11
                                        ; implicit-def: $vgpr2
	s_delay_alu instid0(VALU_DEP_1) | instskip(NEXT) | instid1(VALU_DEP_1)
	v_add_nc_u32_e32 v11, 6, v3
	v_cmpx_ne_u32_e32 0, v11
	s_xor_b32 s2, exec_lo, s2
; %bb.222:
	v_cmp_lt_u64_e32 vcc_lo, 0xffffff, v[0:1]
	v_add_nc_u32_e32 v2, 7, v3
	v_cndmask_b32_e64 v3, 0, 1, vcc_lo
	s_delay_alu instid0(VALU_DEP_2) | instskip(NEXT) | instid1(VALU_DEP_2)
	v_cndmask_b32_e32 v2, v11, v2, vcc_lo
	v_lshrrev_b64 v[0:1], v3, v[0:1]
; %bb.223:
	s_and_not1_saveexec_b32 s2, s2
; %bb.224:
	s_delay_alu instid0(VALU_DEP_1)
	v_bfe_u32 v2, v0, 23, 1
; %bb.225:
	s_or_b32 exec_lo, exec_lo, s2
	s_delay_alu instid0(VALU_DEP_2) | instskip(NEXT) | instid1(VALU_DEP_2)
	v_lshrrev_b64 v[0:1], 20, v[0:1]
	v_cmp_gt_i32_e32 vcc_lo, 16, v2
	v_cmp_ne_u32_e64 s2, 0, v2
                                        ; implicit-def: $vgpr11
	s_delay_alu instid0(VALU_DEP_3) | instskip(NEXT) | instid1(VALU_DEP_1)
	v_dual_cndmask_b32 v1, 0, v1 :: v_dual_cndmask_b32 v0, 7, v0
	v_cmp_ne_u64_e32 vcc_lo, 0, v[0:1]
	s_delay_alu instid0(VALU_DEP_3) | instskip(NEXT) | instid1(SALU_CYCLE_1)
	s_or_b32 s2, s2, vcc_lo
	s_and_saveexec_b32 s6, s2
	s_delay_alu instid0(SALU_CYCLE_1)
	s_xor_b32 s2, exec_lo, s6
; %bb.226:
	v_min_i32_e32 v1, 15, v2
	s_delay_alu instid0(VALU_DEP_1) | instskip(NEXT) | instid1(VALU_DEP_1)
	v_lshl_or_b32 v1, v1, 3, v25
                                        ; implicit-def: $vgpr25
	v_and_or_b32 v11, v0, 7, v1
; %bb.227:
	s_and_not1_saveexec_b32 s2, s2
; %bb.228:
	v_mov_b32_e32 v11, v25
; %bb.229:
	s_or_b32 exec_lo, exec_lo, s2
.LBB12_230:
	s_delay_alu instid0(SALU_CYCLE_1)
	s_or_b32 exec_lo, exec_lo, s5
.LBB12_231:
	s_and_not1_saveexec_b32 s2, s4
	s_delay_alu instid0(SALU_CYCLE_1)
	s_or_b32 exec_lo, exec_lo, s2
                                        ; implicit-def: $vgpr3
                                        ; implicit-def: $vgpr0_vgpr1
.LBB12_232:
	s_and_not1_saveexec_b32 s2, s3
; %bb.233:
	v_cmp_eq_u64_e32 vcc_lo, 0, v[0:1]
	v_or_b32_e32 v2, 0x7f, v3
	s_delay_alu instid0(VALU_DEP_1)
	v_cndmask_b32_e32 v11, v2, v11, vcc_lo
; %bb.234:
	s_or_b32 exec_lo, exec_lo, s2
	v_dual_mul_f32 v0, v12, v24 :: v_dual_mov_b32 v1, 0
	s_mov_b32 s2, 0xc3e00000
	s_delay_alu instid0(VALU_DEP_1) | instid1(SALU_CYCLE_1)
	v_maxmin_f32 v2, v0, s2, 0x43e00000
	s_mov_b32 s2, exec_lo
	s_delay_alu instid0(VALU_DEP_2) | instskip(NEXT) | instid1(VALU_DEP_2)
	v_mov_b32_e32 v27, v1
	v_lshrrev_b32_e32 v3, 24, v2
	v_and_b32_e32 v26, 0x7f800000, v2
	v_and_b32_e32 v0, 0x7fffff, v2
	s_delay_alu instid0(VALU_DEP_3) | instskip(NEXT) | instid1(VALU_DEP_1)
	v_and_b32_e32 v25, 0x80, v3
	v_or_b32_e32 v12, 0x7e, v25
	s_delay_alu instid0(VALU_DEP_4)
	v_cmpx_ne_u64_e32 0x7f800000, v[26:27]
	s_xor_b32 s3, exec_lo, s2
	s_cbranch_execz .LBB12_250
; %bb.235:
	v_dual_mov_b32 v27, v1 :: v_dual_and_b32 v26, 0x7fffffff, v2
	s_mov_b32 s2, exec_lo
	s_delay_alu instid0(VALU_DEP_1)
	v_cmpx_gt_u64_e32 0x43e00001, v[26:27]
	s_xor_b32 s4, exec_lo, s2
	s_cbranch_execz .LBB12_249
; %bb.236:
	v_mov_b32_e32 v12, 0
	s_mov_b32 s5, exec_lo
	v_cmpx_ne_u32_e32 0, v2
	s_cbranch_execz .LBB12_248
; %bb.237:
	v_bfe_u32 v12, v2, 23, 8
	v_or_b32_e32 v27, 0x800000, v0
	s_delay_alu instid0(VALU_DEP_2) | instskip(SKIP_1) | instid1(VALU_DEP_2)
	v_sub_nc_u32_e32 v2, 0x79, v12
	v_cmp_gt_u32_e32 vcc_lo, 0x7a, v12
	v_cndmask_b32_e32 v2, 0, v2, vcc_lo
	v_cmp_eq_u32_e32 vcc_lo, 0, v12
	s_delay_alu instid0(VALU_DEP_2) | instskip(NEXT) | instid1(VALU_DEP_1)
	v_cndmask_b32_e64 v26, v2, 0x78, vcc_lo
	v_dual_cndmask_b32 v0, v27, v0 :: v_dual_add_nc_u32 v27, 19, v26
	v_add_nc_u32_e32 v2, 20, v26
	s_delay_alu instid0(VALU_DEP_1) | instskip(NEXT) | instid1(VALU_DEP_1)
	v_lshlrev_b64 v[2:3], v2, -1
	v_not_b32_e32 v29, v2
	s_delay_alu instid0(VALU_DEP_2) | instskip(SKIP_1) | instid1(VALU_DEP_3)
	v_not_b32_e32 v28, v3
	v_lshlrev_b64 v[2:3], v27, 1
	v_and_b32_e32 v27, v0, v29
	v_lshrrev_b64 v[0:1], v26, v[0:1]
	s_delay_alu instid0(VALU_DEP_4) | instskip(NEXT) | instid1(VALU_DEP_1)
	v_and_b32_e32 v28, 0, v28
	v_cmp_eq_u64_e64 s2, v[27:28], v[2:3]
	s_delay_alu instid0(VALU_DEP_3) | instskip(NEXT) | instid1(VALU_DEP_2)
	v_dual_mov_b32 v3, v1 :: v_dual_mov_b32 v2, v0
	s_and_saveexec_b32 s6, s2
; %bb.238:
	v_bfe_u32 v2, v0, 20, 1
	s_delay_alu instid0(VALU_DEP_1) | instskip(NEXT) | instid1(VALU_DEP_1)
	v_add_co_u32 v2, s2, v0, v2
	v_add_co_u32 v2, s2, v2, -1
; %bb.239:
	s_or_b32 exec_lo, exec_lo, s6
	v_add_nc_u32_e32 v3, 0xffffff81, v12
	v_lshrrev_b32_e32 v12, 23, v0
	s_delay_alu instid0(VALU_DEP_3) | instskip(SKIP_1) | instid1(VALU_DEP_3)
	v_and_b32_e32 v2, 0xfffff, v2
	s_mov_b32 s2, exec_lo
	v_cndmask_b32_e64 v3, v3, 0xffffff82, vcc_lo
	s_delay_alu instid0(VALU_DEP_2) | instskip(SKIP_1) | instid1(VALU_DEP_3)
	v_add_co_u32 v0, vcc_lo, v2, v0
	v_add_co_ci_u32_e32 v1, vcc_lo, 0, v1, vcc_lo
	v_add3_u32 v3, v26, v3, v12
                                        ; implicit-def: $vgpr2
	s_delay_alu instid0(VALU_DEP_1) | instskip(NEXT) | instid1(VALU_DEP_1)
	v_add_nc_u32_e32 v12, 6, v3
	v_cmpx_ne_u32_e32 0, v12
	s_xor_b32 s2, exec_lo, s2
; %bb.240:
	v_cmp_lt_u64_e32 vcc_lo, 0xffffff, v[0:1]
	v_add_nc_u32_e32 v2, 7, v3
	v_cndmask_b32_e64 v3, 0, 1, vcc_lo
	s_delay_alu instid0(VALU_DEP_2) | instskip(NEXT) | instid1(VALU_DEP_2)
	v_cndmask_b32_e32 v2, v12, v2, vcc_lo
	v_lshrrev_b64 v[0:1], v3, v[0:1]
; %bb.241:
	s_and_not1_saveexec_b32 s2, s2
; %bb.242:
	s_delay_alu instid0(VALU_DEP_1)
	v_bfe_u32 v2, v0, 23, 1
; %bb.243:
	s_or_b32 exec_lo, exec_lo, s2
	s_delay_alu instid0(VALU_DEP_2) | instskip(NEXT) | instid1(VALU_DEP_2)
	v_lshrrev_b64 v[0:1], 20, v[0:1]
	v_cmp_gt_i32_e32 vcc_lo, 16, v2
	v_cmp_ne_u32_e64 s2, 0, v2
                                        ; implicit-def: $vgpr12
	s_delay_alu instid0(VALU_DEP_3) | instskip(NEXT) | instid1(VALU_DEP_1)
	v_dual_cndmask_b32 v1, 0, v1 :: v_dual_cndmask_b32 v0, 7, v0
	v_cmp_ne_u64_e32 vcc_lo, 0, v[0:1]
	s_delay_alu instid0(VALU_DEP_3) | instskip(NEXT) | instid1(SALU_CYCLE_1)
	s_or_b32 s2, s2, vcc_lo
	s_and_saveexec_b32 s6, s2
	s_delay_alu instid0(SALU_CYCLE_1)
	s_xor_b32 s2, exec_lo, s6
; %bb.244:
	v_min_i32_e32 v1, 15, v2
	s_delay_alu instid0(VALU_DEP_1) | instskip(NEXT) | instid1(VALU_DEP_1)
	v_lshl_or_b32 v1, v1, 3, v25
                                        ; implicit-def: $vgpr25
	v_and_or_b32 v12, v0, 7, v1
; %bb.245:
	s_and_not1_saveexec_b32 s2, s2
; %bb.246:
	v_mov_b32_e32 v12, v25
; %bb.247:
	s_or_b32 exec_lo, exec_lo, s2
.LBB12_248:
	s_delay_alu instid0(SALU_CYCLE_1)
	s_or_b32 exec_lo, exec_lo, s5
.LBB12_249:
	s_and_not1_saveexec_b32 s2, s4
	s_delay_alu instid0(SALU_CYCLE_1)
	s_or_b32 exec_lo, exec_lo, s2
                                        ; implicit-def: $vgpr3
                                        ; implicit-def: $vgpr0_vgpr1
.LBB12_250:
	s_and_not1_saveexec_b32 s2, s3
; %bb.251:
	v_cmp_eq_u64_e32 vcc_lo, 0, v[0:1]
	v_or_b32_e32 v2, 0x7f, v3
	s_delay_alu instid0(VALU_DEP_1)
	v_cndmask_b32_e32 v12, v2, v12, vcc_lo
; %bb.252:
	s_or_b32 exec_lo, exec_lo, s2
	v_dual_mul_f32 v0, v13, v24 :: v_dual_mov_b32 v1, 0
	s_mov_b32 s2, 0xc3e00000
	s_delay_alu instid0(VALU_DEP_1) | instid1(SALU_CYCLE_1)
	v_maxmin_f32 v2, v0, s2, 0x43e00000
	s_mov_b32 s2, exec_lo
	s_delay_alu instid0(VALU_DEP_2) | instskip(NEXT) | instid1(VALU_DEP_2)
	v_mov_b32_e32 v27, v1
	v_lshrrev_b32_e32 v3, 24, v2
	v_and_b32_e32 v26, 0x7f800000, v2
	v_and_b32_e32 v0, 0x7fffff, v2
	s_delay_alu instid0(VALU_DEP_3) | instskip(NEXT) | instid1(VALU_DEP_1)
	v_and_b32_e32 v25, 0x80, v3
	v_or_b32_e32 v13, 0x7e, v25
	s_delay_alu instid0(VALU_DEP_4)
	v_cmpx_ne_u64_e32 0x7f800000, v[26:27]
	s_xor_b32 s3, exec_lo, s2
	s_cbranch_execz .LBB12_268
; %bb.253:
	v_dual_mov_b32 v27, v1 :: v_dual_and_b32 v26, 0x7fffffff, v2
	s_mov_b32 s2, exec_lo
	s_delay_alu instid0(VALU_DEP_1)
	v_cmpx_gt_u64_e32 0x43e00001, v[26:27]
	s_xor_b32 s4, exec_lo, s2
	s_cbranch_execz .LBB12_267
; %bb.254:
	v_mov_b32_e32 v13, 0
	s_mov_b32 s5, exec_lo
	v_cmpx_ne_u32_e32 0, v2
	s_cbranch_execz .LBB12_266
; %bb.255:
	v_bfe_u32 v13, v2, 23, 8
	v_or_b32_e32 v27, 0x800000, v0
	s_delay_alu instid0(VALU_DEP_2) | instskip(SKIP_1) | instid1(VALU_DEP_2)
	v_sub_nc_u32_e32 v2, 0x79, v13
	v_cmp_gt_u32_e32 vcc_lo, 0x7a, v13
	v_cndmask_b32_e32 v2, 0, v2, vcc_lo
	v_cmp_eq_u32_e32 vcc_lo, 0, v13
	s_delay_alu instid0(VALU_DEP_2) | instskip(NEXT) | instid1(VALU_DEP_1)
	v_cndmask_b32_e64 v26, v2, 0x78, vcc_lo
	v_dual_cndmask_b32 v0, v27, v0 :: v_dual_add_nc_u32 v27, 19, v26
	v_add_nc_u32_e32 v2, 20, v26
	s_delay_alu instid0(VALU_DEP_1) | instskip(NEXT) | instid1(VALU_DEP_1)
	v_lshlrev_b64 v[2:3], v2, -1
	v_not_b32_e32 v29, v2
	s_delay_alu instid0(VALU_DEP_2) | instskip(SKIP_1) | instid1(VALU_DEP_3)
	v_not_b32_e32 v28, v3
	v_lshlrev_b64 v[2:3], v27, 1
	v_and_b32_e32 v27, v0, v29
	v_lshrrev_b64 v[0:1], v26, v[0:1]
	s_delay_alu instid0(VALU_DEP_4) | instskip(NEXT) | instid1(VALU_DEP_1)
	v_and_b32_e32 v28, 0, v28
	v_cmp_eq_u64_e64 s2, v[27:28], v[2:3]
	s_delay_alu instid0(VALU_DEP_3) | instskip(NEXT) | instid1(VALU_DEP_2)
	v_dual_mov_b32 v3, v1 :: v_dual_mov_b32 v2, v0
	s_and_saveexec_b32 s6, s2
; %bb.256:
	v_bfe_u32 v2, v0, 20, 1
	s_delay_alu instid0(VALU_DEP_1) | instskip(NEXT) | instid1(VALU_DEP_1)
	v_add_co_u32 v2, s2, v0, v2
	v_add_co_u32 v2, s2, v2, -1
; %bb.257:
	s_or_b32 exec_lo, exec_lo, s6
	v_add_nc_u32_e32 v3, 0xffffff81, v13
	v_lshrrev_b32_e32 v13, 23, v0
	s_delay_alu instid0(VALU_DEP_3) | instskip(SKIP_1) | instid1(VALU_DEP_3)
	v_and_b32_e32 v2, 0xfffff, v2
	s_mov_b32 s2, exec_lo
	v_cndmask_b32_e64 v3, v3, 0xffffff82, vcc_lo
	s_delay_alu instid0(VALU_DEP_2) | instskip(SKIP_1) | instid1(VALU_DEP_3)
	v_add_co_u32 v0, vcc_lo, v2, v0
	v_add_co_ci_u32_e32 v1, vcc_lo, 0, v1, vcc_lo
	v_add3_u32 v3, v26, v3, v13
                                        ; implicit-def: $vgpr2
	s_delay_alu instid0(VALU_DEP_1) | instskip(NEXT) | instid1(VALU_DEP_1)
	v_add_nc_u32_e32 v13, 6, v3
	v_cmpx_ne_u32_e32 0, v13
	s_xor_b32 s2, exec_lo, s2
; %bb.258:
	v_cmp_lt_u64_e32 vcc_lo, 0xffffff, v[0:1]
	v_add_nc_u32_e32 v2, 7, v3
	v_cndmask_b32_e64 v3, 0, 1, vcc_lo
	s_delay_alu instid0(VALU_DEP_2) | instskip(NEXT) | instid1(VALU_DEP_2)
	v_cndmask_b32_e32 v2, v13, v2, vcc_lo
	v_lshrrev_b64 v[0:1], v3, v[0:1]
; %bb.259:
	s_and_not1_saveexec_b32 s2, s2
; %bb.260:
	s_delay_alu instid0(VALU_DEP_1)
	v_bfe_u32 v2, v0, 23, 1
; %bb.261:
	s_or_b32 exec_lo, exec_lo, s2
	s_delay_alu instid0(VALU_DEP_2) | instskip(NEXT) | instid1(VALU_DEP_2)
	v_lshrrev_b64 v[0:1], 20, v[0:1]
	v_cmp_gt_i32_e32 vcc_lo, 16, v2
	v_cmp_ne_u32_e64 s2, 0, v2
                                        ; implicit-def: $vgpr13
	s_delay_alu instid0(VALU_DEP_3) | instskip(NEXT) | instid1(VALU_DEP_1)
	v_dual_cndmask_b32 v1, 0, v1 :: v_dual_cndmask_b32 v0, 7, v0
	v_cmp_ne_u64_e32 vcc_lo, 0, v[0:1]
	s_delay_alu instid0(VALU_DEP_3) | instskip(NEXT) | instid1(SALU_CYCLE_1)
	s_or_b32 s2, s2, vcc_lo
	s_and_saveexec_b32 s6, s2
	s_delay_alu instid0(SALU_CYCLE_1)
	s_xor_b32 s2, exec_lo, s6
; %bb.262:
	v_min_i32_e32 v1, 15, v2
	s_delay_alu instid0(VALU_DEP_1) | instskip(NEXT) | instid1(VALU_DEP_1)
	v_lshl_or_b32 v1, v1, 3, v25
                                        ; implicit-def: $vgpr25
	v_and_or_b32 v13, v0, 7, v1
; %bb.263:
	s_and_not1_saveexec_b32 s2, s2
; %bb.264:
	v_mov_b32_e32 v13, v25
; %bb.265:
	s_or_b32 exec_lo, exec_lo, s2
.LBB12_266:
	s_delay_alu instid0(SALU_CYCLE_1)
	s_or_b32 exec_lo, exec_lo, s5
.LBB12_267:
	s_and_not1_saveexec_b32 s2, s4
	s_delay_alu instid0(SALU_CYCLE_1)
	s_or_b32 exec_lo, exec_lo, s2
                                        ; implicit-def: $vgpr3
                                        ; implicit-def: $vgpr0_vgpr1
.LBB12_268:
	s_and_not1_saveexec_b32 s2, s3
; %bb.269:
	v_cmp_eq_u64_e32 vcc_lo, 0, v[0:1]
	v_or_b32_e32 v2, 0x7f, v3
	s_delay_alu instid0(VALU_DEP_1)
	v_cndmask_b32_e32 v13, v2, v13, vcc_lo
; %bb.270:
	s_or_b32 exec_lo, exec_lo, s2
	v_dual_mul_f32 v0, v14, v24 :: v_dual_mov_b32 v1, 0
	s_mov_b32 s2, 0xc3e00000
	s_delay_alu instid0(VALU_DEP_1) | instid1(SALU_CYCLE_1)
	v_maxmin_f32 v2, v0, s2, 0x43e00000
	s_mov_b32 s2, exec_lo
	s_delay_alu instid0(VALU_DEP_2) | instskip(NEXT) | instid1(VALU_DEP_2)
	v_mov_b32_e32 v27, v1
	v_lshrrev_b32_e32 v3, 24, v2
	v_and_b32_e32 v26, 0x7f800000, v2
	v_and_b32_e32 v0, 0x7fffff, v2
	s_delay_alu instid0(VALU_DEP_3) | instskip(NEXT) | instid1(VALU_DEP_1)
	v_and_b32_e32 v25, 0x80, v3
	v_or_b32_e32 v14, 0x7e, v25
	s_delay_alu instid0(VALU_DEP_4)
	v_cmpx_ne_u64_e32 0x7f800000, v[26:27]
	s_xor_b32 s3, exec_lo, s2
	s_cbranch_execz .LBB12_286
; %bb.271:
	v_dual_mov_b32 v27, v1 :: v_dual_and_b32 v26, 0x7fffffff, v2
	s_mov_b32 s2, exec_lo
	s_delay_alu instid0(VALU_DEP_1)
	v_cmpx_gt_u64_e32 0x43e00001, v[26:27]
	s_xor_b32 s4, exec_lo, s2
	s_cbranch_execz .LBB12_285
; %bb.272:
	v_mov_b32_e32 v14, 0
	s_mov_b32 s5, exec_lo
	v_cmpx_ne_u32_e32 0, v2
	s_cbranch_execz .LBB12_284
; %bb.273:
	v_bfe_u32 v14, v2, 23, 8
	v_or_b32_e32 v27, 0x800000, v0
	s_delay_alu instid0(VALU_DEP_2) | instskip(SKIP_1) | instid1(VALU_DEP_2)
	v_sub_nc_u32_e32 v2, 0x79, v14
	v_cmp_gt_u32_e32 vcc_lo, 0x7a, v14
	v_cndmask_b32_e32 v2, 0, v2, vcc_lo
	v_cmp_eq_u32_e32 vcc_lo, 0, v14
	s_delay_alu instid0(VALU_DEP_2) | instskip(NEXT) | instid1(VALU_DEP_1)
	v_cndmask_b32_e64 v26, v2, 0x78, vcc_lo
	v_dual_cndmask_b32 v0, v27, v0 :: v_dual_add_nc_u32 v27, 19, v26
	v_add_nc_u32_e32 v2, 20, v26
	s_delay_alu instid0(VALU_DEP_1) | instskip(NEXT) | instid1(VALU_DEP_1)
	v_lshlrev_b64 v[2:3], v2, -1
	v_not_b32_e32 v29, v2
	s_delay_alu instid0(VALU_DEP_2) | instskip(SKIP_1) | instid1(VALU_DEP_3)
	v_not_b32_e32 v28, v3
	v_lshlrev_b64 v[2:3], v27, 1
	v_and_b32_e32 v27, v0, v29
	v_lshrrev_b64 v[0:1], v26, v[0:1]
	s_delay_alu instid0(VALU_DEP_4) | instskip(NEXT) | instid1(VALU_DEP_1)
	v_and_b32_e32 v28, 0, v28
	v_cmp_eq_u64_e64 s2, v[27:28], v[2:3]
	s_delay_alu instid0(VALU_DEP_3) | instskip(NEXT) | instid1(VALU_DEP_2)
	v_dual_mov_b32 v3, v1 :: v_dual_mov_b32 v2, v0
	s_and_saveexec_b32 s6, s2
; %bb.274:
	v_bfe_u32 v2, v0, 20, 1
	s_delay_alu instid0(VALU_DEP_1) | instskip(NEXT) | instid1(VALU_DEP_1)
	v_add_co_u32 v2, s2, v0, v2
	v_add_co_u32 v2, s2, v2, -1
; %bb.275:
	s_or_b32 exec_lo, exec_lo, s6
	v_add_nc_u32_e32 v3, 0xffffff81, v14
	v_lshrrev_b32_e32 v14, 23, v0
	s_delay_alu instid0(VALU_DEP_3) | instskip(SKIP_1) | instid1(VALU_DEP_3)
	v_and_b32_e32 v2, 0xfffff, v2
	s_mov_b32 s2, exec_lo
	v_cndmask_b32_e64 v3, v3, 0xffffff82, vcc_lo
	s_delay_alu instid0(VALU_DEP_2) | instskip(SKIP_1) | instid1(VALU_DEP_3)
	v_add_co_u32 v0, vcc_lo, v2, v0
	v_add_co_ci_u32_e32 v1, vcc_lo, 0, v1, vcc_lo
	v_add3_u32 v3, v26, v3, v14
                                        ; implicit-def: $vgpr2
	s_delay_alu instid0(VALU_DEP_1) | instskip(NEXT) | instid1(VALU_DEP_1)
	v_add_nc_u32_e32 v14, 6, v3
	v_cmpx_ne_u32_e32 0, v14
	s_xor_b32 s2, exec_lo, s2
; %bb.276:
	v_cmp_lt_u64_e32 vcc_lo, 0xffffff, v[0:1]
	v_add_nc_u32_e32 v2, 7, v3
	v_cndmask_b32_e64 v3, 0, 1, vcc_lo
	s_delay_alu instid0(VALU_DEP_2) | instskip(NEXT) | instid1(VALU_DEP_2)
	v_cndmask_b32_e32 v2, v14, v2, vcc_lo
	v_lshrrev_b64 v[0:1], v3, v[0:1]
; %bb.277:
	s_and_not1_saveexec_b32 s2, s2
; %bb.278:
	s_delay_alu instid0(VALU_DEP_1)
	v_bfe_u32 v2, v0, 23, 1
; %bb.279:
	s_or_b32 exec_lo, exec_lo, s2
	s_delay_alu instid0(VALU_DEP_2) | instskip(NEXT) | instid1(VALU_DEP_2)
	v_lshrrev_b64 v[0:1], 20, v[0:1]
	v_cmp_gt_i32_e32 vcc_lo, 16, v2
	v_cmp_ne_u32_e64 s2, 0, v2
                                        ; implicit-def: $vgpr14
	s_delay_alu instid0(VALU_DEP_3) | instskip(NEXT) | instid1(VALU_DEP_1)
	v_dual_cndmask_b32 v1, 0, v1 :: v_dual_cndmask_b32 v0, 7, v0
	v_cmp_ne_u64_e32 vcc_lo, 0, v[0:1]
	s_delay_alu instid0(VALU_DEP_3) | instskip(NEXT) | instid1(SALU_CYCLE_1)
	s_or_b32 s2, s2, vcc_lo
	s_and_saveexec_b32 s6, s2
	s_delay_alu instid0(SALU_CYCLE_1)
	s_xor_b32 s2, exec_lo, s6
; %bb.280:
	v_min_i32_e32 v1, 15, v2
	s_delay_alu instid0(VALU_DEP_1) | instskip(NEXT) | instid1(VALU_DEP_1)
	v_lshl_or_b32 v1, v1, 3, v25
                                        ; implicit-def: $vgpr25
	v_and_or_b32 v14, v0, 7, v1
; %bb.281:
	s_and_not1_saveexec_b32 s2, s2
; %bb.282:
	v_mov_b32_e32 v14, v25
; %bb.283:
	s_or_b32 exec_lo, exec_lo, s2
.LBB12_284:
	s_delay_alu instid0(SALU_CYCLE_1)
	s_or_b32 exec_lo, exec_lo, s5
.LBB12_285:
	s_and_not1_saveexec_b32 s2, s4
	s_delay_alu instid0(SALU_CYCLE_1)
	s_or_b32 exec_lo, exec_lo, s2
                                        ; implicit-def: $vgpr3
                                        ; implicit-def: $vgpr0_vgpr1
.LBB12_286:
	s_and_not1_saveexec_b32 s2, s3
; %bb.287:
	v_cmp_eq_u64_e32 vcc_lo, 0, v[0:1]
	v_or_b32_e32 v2, 0x7f, v3
	s_delay_alu instid0(VALU_DEP_1)
	v_cndmask_b32_e32 v14, v2, v14, vcc_lo
; %bb.288:
	s_or_b32 exec_lo, exec_lo, s2
	v_dual_mul_f32 v0, v15, v24 :: v_dual_mov_b32 v1, 0
	s_mov_b32 s2, 0xc3e00000
	s_delay_alu instid0(VALU_DEP_1) | instid1(SALU_CYCLE_1)
	v_maxmin_f32 v3, v0, s2, 0x43e00000
	s_mov_b32 s2, exec_lo
	s_delay_alu instid0(VALU_DEP_2) | instskip(NEXT) | instid1(VALU_DEP_2)
	v_mov_b32_e32 v26, v1
	v_lshrrev_b32_e32 v24, 24, v3
	v_and_b32_e32 v25, 0x7f800000, v3
	v_and_b32_e32 v0, 0x7fffff, v3
	s_delay_alu instid0(VALU_DEP_3) | instskip(NEXT) | instid1(VALU_DEP_1)
	v_and_b32_e32 v15, 0x80, v24
	v_or_b32_e32 v2, 0x7e, v15
	s_delay_alu instid0(VALU_DEP_4)
	v_cmpx_ne_u64_e32 0x7f800000, v[25:26]
	s_xor_b32 s3, exec_lo, s2
	s_cbranch_execz .LBB12_304
; %bb.289:
	v_dual_mov_b32 v25, v1 :: v_dual_and_b32 v24, 0x7fffffff, v3
	s_mov_b32 s2, exec_lo
	s_delay_alu instid0(VALU_DEP_1)
	v_cmpx_gt_u64_e32 0x43e00001, v[24:25]
	s_xor_b32 s4, exec_lo, s2
	s_cbranch_execz .LBB12_303
; %bb.290:
	v_mov_b32_e32 v2, 0
	s_mov_b32 s5, exec_lo
	v_cmpx_ne_u32_e32 0, v3
	s_cbranch_execz .LBB12_302
; %bb.291:
	v_bfe_u32 v24, v3, 23, 8
	v_or_b32_e32 v26, 0x800000, v0
	s_delay_alu instid0(VALU_DEP_2) | instskip(SKIP_1) | instid1(VALU_DEP_2)
	v_sub_nc_u32_e32 v2, 0x79, v24
	v_cmp_gt_u32_e32 vcc_lo, 0x7a, v24
	v_cndmask_b32_e32 v2, 0, v2, vcc_lo
	v_cmp_eq_u32_e32 vcc_lo, 0, v24
	s_delay_alu instid0(VALU_DEP_2) | instskip(SKIP_1) | instid1(VALU_DEP_2)
	v_cndmask_b32_e64 v25, v2, 0x78, vcc_lo
	v_cndmask_b32_e32 v0, v26, v0, vcc_lo
	v_add_nc_u32_e32 v2, 20, v25
	v_add_nc_u32_e32 v26, 19, v25
	s_delay_alu instid0(VALU_DEP_2) | instskip(NEXT) | instid1(VALU_DEP_1)
	v_lshlrev_b64 v[2:3], v2, -1
	v_not_b32_e32 v28, v2
	s_delay_alu instid0(VALU_DEP_2) | instskip(NEXT) | instid1(VALU_DEP_4)
	v_not_b32_e32 v27, v3
	v_lshlrev_b64 v[2:3], v26, 1
	s_delay_alu instid0(VALU_DEP_3) | instskip(SKIP_1) | instid1(VALU_DEP_4)
	v_and_b32_e32 v26, v0, v28
	v_lshrrev_b64 v[0:1], v25, v[0:1]
	v_and_b32_e32 v27, 0, v27
	s_delay_alu instid0(VALU_DEP_1) | instskip(NEXT) | instid1(VALU_DEP_3)
	v_cmp_eq_u64_e64 s2, v[26:27], v[2:3]
	v_dual_mov_b32 v3, v1 :: v_dual_mov_b32 v2, v0
	s_delay_alu instid0(VALU_DEP_2)
	s_and_saveexec_b32 s6, s2
; %bb.292:
	v_bfe_u32 v2, v0, 20, 1
	s_delay_alu instid0(VALU_DEP_1) | instskip(NEXT) | instid1(VALU_DEP_1)
	v_add_co_u32 v2, s2, v0, v2
	v_add_co_u32 v2, s2, v2, -1
; %bb.293:
	s_or_b32 exec_lo, exec_lo, s6
	v_add_nc_u32_e32 v3, 0xffffff81, v24
	v_lshrrev_b32_e32 v24, 23, v0
	s_mov_b32 s2, exec_lo
	s_delay_alu instid0(VALU_DEP_2) | instskip(NEXT) | instid1(VALU_DEP_1)
	v_cndmask_b32_e64 v3, v3, 0xffffff82, vcc_lo
	v_add3_u32 v24, v25, v3, v24
	v_and_b32_e32 v3, 0xfffff, v2
	s_delay_alu instid0(VALU_DEP_2) | instskip(NEXT) | instid1(VALU_DEP_2)
	v_add_nc_u32_e32 v2, 6, v24
	v_add_co_u32 v0, vcc_lo, v3, v0
	v_add_co_ci_u32_e32 v1, vcc_lo, 0, v1, vcc_lo
                                        ; implicit-def: $vgpr3
	s_delay_alu instid0(VALU_DEP_3)
	v_cmpx_ne_u32_e32 0, v2
	s_xor_b32 s2, exec_lo, s2
; %bb.294:
	s_delay_alu instid0(VALU_DEP_2) | instskip(SKIP_1) | instid1(VALU_DEP_1)
	v_cmp_lt_u64_e32 vcc_lo, 0xffffff, v[0:1]
	v_add_nc_u32_e32 v3, 7, v24
	v_cndmask_b32_e32 v3, v2, v3, vcc_lo
	v_cndmask_b32_e64 v2, 0, 1, vcc_lo
	s_delay_alu instid0(VALU_DEP_1)
	v_lshrrev_b64 v[0:1], v2, v[0:1]
; %bb.295:
	s_and_not1_saveexec_b32 s2, s2
; %bb.296:
	s_delay_alu instid0(VALU_DEP_1)
	v_bfe_u32 v3, v0, 23, 1
; %bb.297:
	s_or_b32 exec_lo, exec_lo, s2
	s_delay_alu instid0(VALU_DEP_2) | instskip(NEXT) | instid1(VALU_DEP_2)
	v_lshrrev_b64 v[0:1], 20, v[0:1]
	v_cmp_gt_i32_e32 vcc_lo, 16, v3
	v_cmp_ne_u32_e64 s2, 0, v3
                                        ; implicit-def: $vgpr2
	s_delay_alu instid0(VALU_DEP_3) | instskip(NEXT) | instid1(VALU_DEP_1)
	v_dual_cndmask_b32 v1, 0, v1 :: v_dual_cndmask_b32 v0, 7, v0
	v_cmp_ne_u64_e32 vcc_lo, 0, v[0:1]
	s_delay_alu instid0(VALU_DEP_3) | instskip(NEXT) | instid1(SALU_CYCLE_1)
	s_or_b32 s2, s2, vcc_lo
	s_and_saveexec_b32 s6, s2
	s_delay_alu instid0(SALU_CYCLE_1)
	s_xor_b32 s2, exec_lo, s6
; %bb.298:
	v_min_i32_e32 v1, 15, v3
	s_delay_alu instid0(VALU_DEP_1) | instskip(NEXT) | instid1(VALU_DEP_1)
	v_lshl_or_b32 v1, v1, 3, v15
                                        ; implicit-def: $vgpr15
	v_and_or_b32 v2, v0, 7, v1
; %bb.299:
	s_and_not1_saveexec_b32 s2, s2
; %bb.300:
	v_mov_b32_e32 v2, v15
; %bb.301:
	s_or_b32 exec_lo, exec_lo, s2
.LBB12_302:
	s_delay_alu instid0(SALU_CYCLE_1)
	s_or_b32 exec_lo, exec_lo, s5
.LBB12_303:
	s_and_not1_saveexec_b32 s2, s4
	s_delay_alu instid0(SALU_CYCLE_1)
	s_or_b32 exec_lo, exec_lo, s2
                                        ; implicit-def: $vgpr24
                                        ; implicit-def: $vgpr0_vgpr1
.LBB12_304:
	s_or_saveexec_b32 s4, s3
	s_load_b64 s[2:3], s[0:1], 0x28
	s_xor_b32 exec_lo, exec_lo, s4
; %bb.305:
	v_cmp_eq_u64_e32 vcc_lo, 0, v[0:1]
	v_or_b32_e32 v3, 0x7f, v24
	s_delay_alu instid0(VALU_DEP_1)
	v_cndmask_b32_e32 v2, v3, v2, vcc_lo
; %bb.306:
	s_or_b32 exec_lo, exec_lo, s4
	s_load_b128 s[4:7], s[0:1], 0x70
	v_lshlrev_b16 v3, 8, v23
	v_and_b32_e32 v22, 0xff, v22
	v_lshlrev_b16 v5, 8, v5
	v_and_b32_e32 v4, 0xff, v4
	v_mul_lo_u32 v15, v19, s10
	v_mul_lo_u32 v24, v18, s13
	v_mad_u64_u32 v[0:1], null, v18, s10, 0
	v_or_b32_e32 v22, v22, v3
	v_or_b32_e32 v5, v4, v5
	v_lshlrev_b16 v21, 8, v21
	v_and_b32_e32 v20, 0xff, v20
	v_lshlrev_b16 v7, 8, v7
	v_and_b32_e32 v6, 0xff, v6
	v_add3_u32 v1, v1, v24, v15
	v_sub_co_u32 v0, vcc_lo, v16, v0
	v_or_b32_e32 v20, v20, v21
	v_lshlrev_b16 v2, 8, v2
	s_waitcnt lgkmcnt(0)
	v_mad_u64_u32 v[3:4], null, v18, s4, s[2:3]
	v_mul_lo_u32 v18, v18, s5
	v_mul_lo_u32 v19, v19, s4
	v_sub_co_ci_u32_e32 v1, vcc_lo, v17, v1, vcc_lo
	v_lshlrev_b32_e32 v16, 16, v20
	v_mul_lo_u32 v17, v0, s7
	v_or_b32_e32 v6, v6, v7
	s_delay_alu instid0(VALU_DEP_4)
	v_mul_lo_u32 v1, v1, s6
	v_and_b32_e32 v15, 0xffff, v22
	v_add3_u32 v4, v19, v4, v18
	v_and_b32_e32 v5, 0xffff, v5
	v_lshlrev_b32_e32 v6, 16, v6
	s_mov_b32 s8, exec_lo
	v_or_b32_e32 v16, v15, v16
	v_mad_u64_u32 v[20:21], null, v0, s6, v[3:4]
	v_lshlrev_b16 v0, 8, v9
	v_and_b32_e32 v3, 0xff, v8
	v_lshlrev_b16 v4, 8, v11
	v_and_b32_e32 v8, 0xff, v10
	v_lshlrev_b16 v9, 8, v13
	v_and_b32_e32 v10, 0xff, v12
	v_and_b32_e32 v11, 0xff, v14
	v_or_b32_e32 v0, v3, v0
	v_or_b32_e32 v3, v8, v4
	v_add3_u32 v21, v1, v21, v17
	v_or_b32_e32 v4, v10, v9
	v_or_b32_e32 v2, v11, v2
	v_and_b32_e32 v0, 0xffff, v0
	v_lshlrev_b32_e32 v3, 16, v3
	v_or_b32_e32 v17, v5, v6
	v_and_b32_e32 v4, 0xffff, v4
	v_lshlrev_b32_e32 v2, 16, v2
	s_delay_alu instid0(VALU_DEP_4) | instskip(NEXT) | instid1(VALU_DEP_2)
	v_or_b32_e32 v18, v0, v3
	v_or_b32_e32 v19, v4, v2
.LBB12_307:
	s_or_b32 exec_lo, exec_lo, s12
	s_delay_alu instid0(SALU_CYCLE_1)
	s_and_b32 s6, s8, exec_lo
                                        ; implicit-def: $vgpr33_vgpr34
                                        ; implicit-def: $vgpr31
                                        ; implicit-def: $vgpr0_vgpr1_vgpr2_vgpr3_vgpr4_vgpr5_vgpr6_vgpr7_vgpr8_vgpr9_vgpr10_vgpr11_vgpr12_vgpr13_vgpr14_vgpr15
	s_and_not1_saveexec_b32 s7, s11
	s_cbranch_execz .LBB12_10
.LBB12_308:
	s_load_b64 s[2:3], s[0:1], 0x50
	v_mov_b32_e32 v17, 0
	s_delay_alu instid0(VALU_DEP_1)
	v_mov_b32_e32 v22, v17
	s_waitcnt lgkmcnt(0)
	s_load_b32 s3, s[2:3], 0x0
	s_mov_b32 s2, 0xc3e00000
	s_waitcnt lgkmcnt(0)
	v_mul_f32_e32 v0, s3, v0
	s_delay_alu instid0(VALU_DEP_1) | instskip(SKIP_1) | instid1(VALU_DEP_1)
	v_maxmin_f32 v19, v0, s2, 0x43e00000
	s_mov_b32 s2, exec_lo
	v_lshrrev_b32_e32 v20, 24, v19
	v_and_b32_e32 v21, 0x7f800000, v19
	v_and_b32_e32 v16, 0x7fffff, v19
	s_delay_alu instid0(VALU_DEP_3) | instskip(NEXT) | instid1(VALU_DEP_1)
	v_and_b32_e32 v0, 0x80, v20
	v_or_b32_e32 v18, 0x7e, v0
	s_delay_alu instid0(VALU_DEP_4)
	v_cmpx_ne_u64_e32 0x7f800000, v[21:22]
	s_xor_b32 s4, exec_lo, s2
	s_cbranch_execz .LBB12_324
; %bb.309:
	v_dual_mov_b32 v21, v17 :: v_dual_and_b32 v20, 0x7fffffff, v19
	s_mov_b32 s2, exec_lo
	s_delay_alu instid0(VALU_DEP_1)
	v_cmpx_gt_u64_e32 0x43e00001, v[20:21]
	s_xor_b32 s5, exec_lo, s2
	s_cbranch_execz .LBB12_323
; %bb.310:
	v_mov_b32_e32 v18, 0
	s_mov_b32 s8, exec_lo
	v_cmpx_ne_u32_e32 0, v19
	s_cbranch_execz .LBB12_322
; %bb.311:
	v_bfe_u32 v20, v19, 23, 8
	v_or_b32_e32 v22, 0x800000, v16
	s_delay_alu instid0(VALU_DEP_2) | instskip(SKIP_1) | instid1(VALU_DEP_2)
	v_sub_nc_u32_e32 v18, 0x79, v20
	v_cmp_gt_u32_e32 vcc_lo, 0x7a, v20
	v_cndmask_b32_e32 v18, 0, v18, vcc_lo
	v_cmp_eq_u32_e32 vcc_lo, 0, v20
	s_delay_alu instid0(VALU_DEP_2) | instskip(SKIP_1) | instid1(VALU_DEP_2)
	v_cndmask_b32_e64 v21, v18, 0x78, vcc_lo
	v_cndmask_b32_e32 v16, v22, v16, vcc_lo
	v_add_nc_u32_e32 v18, 20, v21
	v_add_nc_u32_e32 v22, 19, v21
	s_delay_alu instid0(VALU_DEP_2) | instskip(NEXT) | instid1(VALU_DEP_1)
	v_lshlrev_b64 v[18:19], v18, -1
	v_not_b32_e32 v24, v18
	s_delay_alu instid0(VALU_DEP_2) | instskip(NEXT) | instid1(VALU_DEP_4)
	v_not_b32_e32 v23, v19
	v_lshlrev_b64 v[18:19], v22, 1
	s_delay_alu instid0(VALU_DEP_3) | instskip(SKIP_1) | instid1(VALU_DEP_4)
	v_and_b32_e32 v22, v16, v24
	v_lshrrev_b64 v[16:17], v21, v[16:17]
	v_and_b32_e32 v23, 0, v23
	s_delay_alu instid0(VALU_DEP_1) | instskip(NEXT) | instid1(VALU_DEP_3)
	v_cmp_eq_u64_e64 s2, v[22:23], v[18:19]
	v_dual_mov_b32 v19, v17 :: v_dual_mov_b32 v18, v16
	s_delay_alu instid0(VALU_DEP_2)
	s_and_saveexec_b32 s9, s2
; %bb.312:
	v_bfe_u32 v18, v16, 20, 1
	s_delay_alu instid0(VALU_DEP_1) | instskip(NEXT) | instid1(VALU_DEP_1)
	v_add_co_u32 v18, s2, v16, v18
	v_add_co_u32 v18, s2, v18, -1
; %bb.313:
	s_or_b32 exec_lo, exec_lo, s9
	v_add_nc_u32_e32 v19, 0xffffff81, v20
	v_lshrrev_b32_e32 v20, 23, v16
	s_mov_b32 s2, exec_lo
	s_delay_alu instid0(VALU_DEP_2) | instskip(NEXT) | instid1(VALU_DEP_1)
	v_cndmask_b32_e64 v19, v19, 0xffffff82, vcc_lo
	v_add3_u32 v20, v21, v19, v20
	v_and_b32_e32 v19, 0xfffff, v18
	s_delay_alu instid0(VALU_DEP_2) | instskip(NEXT) | instid1(VALU_DEP_2)
	v_add_nc_u32_e32 v18, 6, v20
	v_add_co_u32 v16, vcc_lo, v19, v16
	v_add_co_ci_u32_e32 v17, vcc_lo, 0, v17, vcc_lo
                                        ; implicit-def: $vgpr19
	s_delay_alu instid0(VALU_DEP_3)
	v_cmpx_ne_u32_e32 0, v18
	s_xor_b32 s2, exec_lo, s2
; %bb.314:
	s_delay_alu instid0(VALU_DEP_2) | instskip(SKIP_1) | instid1(VALU_DEP_1)
	v_cmp_lt_u64_e32 vcc_lo, 0xffffff, v[16:17]
	v_add_nc_u32_e32 v19, 7, v20
	v_cndmask_b32_e32 v19, v18, v19, vcc_lo
	v_cndmask_b32_e64 v18, 0, 1, vcc_lo
	s_delay_alu instid0(VALU_DEP_1)
	v_lshrrev_b64 v[16:17], v18, v[16:17]
; %bb.315:
	s_and_not1_saveexec_b32 s2, s2
; %bb.316:
	s_delay_alu instid0(VALU_DEP_1)
	v_bfe_u32 v19, v16, 23, 1
; %bb.317:
	s_or_b32 exec_lo, exec_lo, s2
	s_delay_alu instid0(VALU_DEP_2) | instskip(NEXT) | instid1(VALU_DEP_2)
	v_lshrrev_b64 v[16:17], 20, v[16:17]
	v_cmp_gt_i32_e32 vcc_lo, 16, v19
	v_cmp_ne_u32_e64 s2, 0, v19
                                        ; implicit-def: $vgpr18
	s_delay_alu instid0(VALU_DEP_3) | instskip(NEXT) | instid1(VALU_DEP_1)
	v_dual_cndmask_b32 v17, 0, v17 :: v_dual_cndmask_b32 v16, 7, v16
	v_cmp_ne_u64_e32 vcc_lo, 0, v[16:17]
	s_delay_alu instid0(VALU_DEP_3) | instskip(NEXT) | instid1(SALU_CYCLE_1)
	s_or_b32 s2, s2, vcc_lo
	s_and_saveexec_b32 s9, s2
	s_delay_alu instid0(SALU_CYCLE_1)
	s_xor_b32 s2, exec_lo, s9
; %bb.318:
	v_min_i32_e32 v17, 15, v19
	s_delay_alu instid0(VALU_DEP_1) | instskip(NEXT) | instid1(VALU_DEP_1)
	v_lshl_or_b32 v0, v17, 3, v0
	v_and_or_b32 v18, v16, 7, v0
                                        ; implicit-def: $vgpr0
; %bb.319:
	s_and_not1_saveexec_b32 s2, s2
; %bb.320:
	v_mov_b32_e32 v18, v0
; %bb.321:
	s_or_b32 exec_lo, exec_lo, s2
.LBB12_322:
	s_delay_alu instid0(SALU_CYCLE_1)
	s_or_b32 exec_lo, exec_lo, s8
.LBB12_323:
	s_and_not1_saveexec_b32 s2, s5
	s_delay_alu instid0(SALU_CYCLE_1)
	s_or_b32 exec_lo, exec_lo, s2
                                        ; implicit-def: $vgpr20
                                        ; implicit-def: $vgpr16_vgpr17
.LBB12_324:
	s_and_not1_saveexec_b32 s2, s4
; %bb.325:
	v_cmp_eq_u64_e32 vcc_lo, 0, v[16:17]
	v_or_b32_e32 v0, 0x7f, v20
	s_delay_alu instid0(VALU_DEP_1)
	v_cndmask_b32_e32 v18, v0, v18, vcc_lo
; %bb.326:
	s_or_b32 exec_lo, exec_lo, s2
	v_dual_mul_f32 v0, s3, v1 :: v_dual_mov_b32 v1, 0
	s_mov_b32 s2, 0xc3e00000
	s_delay_alu instid0(VALU_DEP_1) | instid1(SALU_CYCLE_1)
	v_maxmin_f32 v16, v0, s2, 0x43e00000
	s_mov_b32 s2, exec_lo
	s_delay_alu instid0(VALU_DEP_2) | instskip(NEXT) | instid1(VALU_DEP_2)
	v_mov_b32_e32 v22, v1
	v_lshrrev_b32_e32 v17, 24, v16
	v_and_b32_e32 v21, 0x7f800000, v16
	v_and_b32_e32 v0, 0x7fffff, v16
	s_delay_alu instid0(VALU_DEP_3) | instskip(NEXT) | instid1(VALU_DEP_1)
	v_and_b32_e32 v20, 0x80, v17
	v_or_b32_e32 v19, 0x7e, v20
	s_delay_alu instid0(VALU_DEP_4)
	v_cmpx_ne_u64_e32 0x7f800000, v[21:22]
	s_xor_b32 s4, exec_lo, s2
	s_cbranch_execz .LBB12_342
; %bb.327:
	v_dual_mov_b32 v22, v1 :: v_dual_and_b32 v21, 0x7fffffff, v16
	s_mov_b32 s2, exec_lo
	s_delay_alu instid0(VALU_DEP_1)
	v_cmpx_gt_u64_e32 0x43e00001, v[21:22]
	s_xor_b32 s5, exec_lo, s2
	s_cbranch_execz .LBB12_341
; %bb.328:
	v_mov_b32_e32 v19, 0
	s_mov_b32 s8, exec_lo
	v_cmpx_ne_u32_e32 0, v16
	s_cbranch_execz .LBB12_340
; %bb.329:
	v_bfe_u32 v19, v16, 23, 8
	v_or_b32_e32 v22, 0x800000, v0
	s_delay_alu instid0(VALU_DEP_2) | instskip(SKIP_1) | instid1(VALU_DEP_2)
	v_sub_nc_u32_e32 v16, 0x79, v19
	v_cmp_gt_u32_e32 vcc_lo, 0x7a, v19
	v_cndmask_b32_e32 v16, 0, v16, vcc_lo
	v_cmp_eq_u32_e32 vcc_lo, 0, v19
	s_delay_alu instid0(VALU_DEP_2) | instskip(SKIP_1) | instid1(VALU_DEP_2)
	v_cndmask_b32_e64 v21, v16, 0x78, vcc_lo
	v_cndmask_b32_e32 v0, v22, v0, vcc_lo
	v_add_nc_u32_e32 v16, 20, v21
	v_add_nc_u32_e32 v22, 19, v21
	s_delay_alu instid0(VALU_DEP_2) | instskip(NEXT) | instid1(VALU_DEP_1)
	v_lshlrev_b64 v[16:17], v16, -1
	v_not_b32_e32 v24, v16
	s_delay_alu instid0(VALU_DEP_2) | instskip(NEXT) | instid1(VALU_DEP_4)
	v_not_b32_e32 v23, v17
	v_lshlrev_b64 v[16:17], v22, 1
	s_delay_alu instid0(VALU_DEP_3) | instskip(SKIP_1) | instid1(VALU_DEP_4)
	v_and_b32_e32 v22, v0, v24
	v_lshrrev_b64 v[0:1], v21, v[0:1]
	v_and_b32_e32 v23, 0, v23
	s_delay_alu instid0(VALU_DEP_1) | instskip(NEXT) | instid1(VALU_DEP_3)
	v_cmp_eq_u64_e64 s2, v[22:23], v[16:17]
	v_dual_mov_b32 v17, v1 :: v_dual_mov_b32 v16, v0
	s_delay_alu instid0(VALU_DEP_2)
	s_and_saveexec_b32 s9, s2
; %bb.330:
	v_bfe_u32 v16, v0, 20, 1
	s_delay_alu instid0(VALU_DEP_1) | instskip(NEXT) | instid1(VALU_DEP_1)
	v_add_co_u32 v16, s2, v0, v16
	v_add_co_u32 v16, s2, v16, -1
; %bb.331:
	s_or_b32 exec_lo, exec_lo, s9
	v_add_nc_u32_e32 v17, 0xffffff81, v19
	v_lshrrev_b32_e32 v19, 23, v0
	s_delay_alu instid0(VALU_DEP_3) | instskip(SKIP_1) | instid1(VALU_DEP_3)
	v_and_b32_e32 v16, 0xfffff, v16
	s_mov_b32 s2, exec_lo
	v_cndmask_b32_e64 v17, v17, 0xffffff82, vcc_lo
	s_delay_alu instid0(VALU_DEP_2) | instskip(SKIP_1) | instid1(VALU_DEP_3)
	v_add_co_u32 v0, vcc_lo, v16, v0
	v_add_co_ci_u32_e32 v1, vcc_lo, 0, v1, vcc_lo
	v_add3_u32 v17, v21, v17, v19
                                        ; implicit-def: $vgpr16
	s_delay_alu instid0(VALU_DEP_1) | instskip(NEXT) | instid1(VALU_DEP_1)
	v_add_nc_u32_e32 v19, 6, v17
	v_cmpx_ne_u32_e32 0, v19
	s_xor_b32 s2, exec_lo, s2
; %bb.332:
	v_cmp_lt_u64_e32 vcc_lo, 0xffffff, v[0:1]
	v_add_nc_u32_e32 v16, 7, v17
	v_cndmask_b32_e64 v17, 0, 1, vcc_lo
	s_delay_alu instid0(VALU_DEP_2) | instskip(NEXT) | instid1(VALU_DEP_2)
	v_cndmask_b32_e32 v16, v19, v16, vcc_lo
	v_lshrrev_b64 v[0:1], v17, v[0:1]
; %bb.333:
	s_and_not1_saveexec_b32 s2, s2
; %bb.334:
	s_delay_alu instid0(VALU_DEP_1)
	v_bfe_u32 v16, v0, 23, 1
; %bb.335:
	s_or_b32 exec_lo, exec_lo, s2
	s_delay_alu instid0(VALU_DEP_2) | instskip(NEXT) | instid1(VALU_DEP_2)
	v_lshrrev_b64 v[0:1], 20, v[0:1]
	v_cmp_gt_i32_e32 vcc_lo, 16, v16
	v_cmp_ne_u32_e64 s2, 0, v16
                                        ; implicit-def: $vgpr19
	s_delay_alu instid0(VALU_DEP_3) | instskip(NEXT) | instid1(VALU_DEP_1)
	v_dual_cndmask_b32 v1, 0, v1 :: v_dual_cndmask_b32 v0, 7, v0
	v_cmp_ne_u64_e32 vcc_lo, 0, v[0:1]
	s_delay_alu instid0(VALU_DEP_3) | instskip(NEXT) | instid1(SALU_CYCLE_1)
	s_or_b32 s2, s2, vcc_lo
	s_and_saveexec_b32 s9, s2
	s_delay_alu instid0(SALU_CYCLE_1)
	s_xor_b32 s2, exec_lo, s9
; %bb.336:
	v_min_i32_e32 v1, 15, v16
	s_delay_alu instid0(VALU_DEP_1) | instskip(NEXT) | instid1(VALU_DEP_1)
	v_lshl_or_b32 v1, v1, 3, v20
                                        ; implicit-def: $vgpr20
	v_and_or_b32 v19, v0, 7, v1
; %bb.337:
	s_and_not1_saveexec_b32 s2, s2
; %bb.338:
	v_mov_b32_e32 v19, v20
; %bb.339:
	s_or_b32 exec_lo, exec_lo, s2
.LBB12_340:
	s_delay_alu instid0(SALU_CYCLE_1)
	s_or_b32 exec_lo, exec_lo, s8
.LBB12_341:
	s_and_not1_saveexec_b32 s2, s5
	s_delay_alu instid0(SALU_CYCLE_1)
	s_or_b32 exec_lo, exec_lo, s2
                                        ; implicit-def: $vgpr17
                                        ; implicit-def: $vgpr0_vgpr1
.LBB12_342:
	s_and_not1_saveexec_b32 s2, s4
; %bb.343:
	v_cmp_eq_u64_e32 vcc_lo, 0, v[0:1]
	v_or_b32_e32 v16, 0x7f, v17
	s_delay_alu instid0(VALU_DEP_1)
	v_cndmask_b32_e32 v19, v16, v19, vcc_lo
; %bb.344:
	s_or_b32 exec_lo, exec_lo, s2
	v_dual_mul_f32 v0, s3, v2 :: v_dual_mov_b32 v1, 0
	s_mov_b32 s2, 0xc3e00000
	s_delay_alu instid0(VALU_DEP_1) | instid1(SALU_CYCLE_1)
	v_maxmin_f32 v17, v0, s2, 0x43e00000
	s_mov_b32 s2, exec_lo
	s_delay_alu instid0(VALU_DEP_2) | instskip(NEXT) | instid1(VALU_DEP_2)
	v_mov_b32_e32 v22, v1
	v_lshrrev_b32_e32 v20, 24, v17
	v_and_b32_e32 v21, 0x7f800000, v17
	v_and_b32_e32 v0, 0x7fffff, v17
	s_delay_alu instid0(VALU_DEP_3) | instskip(NEXT) | instid1(VALU_DEP_1)
	v_and_b32_e32 v2, 0x80, v20
	v_or_b32_e32 v16, 0x7e, v2
	s_delay_alu instid0(VALU_DEP_4)
	v_cmpx_ne_u64_e32 0x7f800000, v[21:22]
	s_xor_b32 s4, exec_lo, s2
	s_cbranch_execz .LBB12_360
; %bb.345:
	v_dual_mov_b32 v21, v1 :: v_dual_and_b32 v20, 0x7fffffff, v17
	s_mov_b32 s2, exec_lo
	s_delay_alu instid0(VALU_DEP_1)
	v_cmpx_gt_u64_e32 0x43e00001, v[20:21]
	s_xor_b32 s5, exec_lo, s2
	s_cbranch_execz .LBB12_359
; %bb.346:
	v_mov_b32_e32 v16, 0
	s_mov_b32 s8, exec_lo
	v_cmpx_ne_u32_e32 0, v17
	s_cbranch_execz .LBB12_358
; %bb.347:
	v_bfe_u32 v20, v17, 23, 8
	v_or_b32_e32 v22, 0x800000, v0
	s_delay_alu instid0(VALU_DEP_2) | instskip(SKIP_1) | instid1(VALU_DEP_2)
	v_sub_nc_u32_e32 v16, 0x79, v20
	v_cmp_gt_u32_e32 vcc_lo, 0x7a, v20
	v_cndmask_b32_e32 v16, 0, v16, vcc_lo
	v_cmp_eq_u32_e32 vcc_lo, 0, v20
	s_delay_alu instid0(VALU_DEP_2) | instskip(SKIP_1) | instid1(VALU_DEP_2)
	v_cndmask_b32_e64 v21, v16, 0x78, vcc_lo
	v_cndmask_b32_e32 v0, v22, v0, vcc_lo
	v_add_nc_u32_e32 v16, 20, v21
	v_add_nc_u32_e32 v22, 19, v21
	s_delay_alu instid0(VALU_DEP_2) | instskip(NEXT) | instid1(VALU_DEP_1)
	v_lshlrev_b64 v[16:17], v16, -1
	v_not_b32_e32 v24, v16
	s_delay_alu instid0(VALU_DEP_2) | instskip(NEXT) | instid1(VALU_DEP_4)
	v_not_b32_e32 v23, v17
	v_lshlrev_b64 v[16:17], v22, 1
	s_delay_alu instid0(VALU_DEP_3) | instskip(SKIP_1) | instid1(VALU_DEP_4)
	v_and_b32_e32 v22, v0, v24
	v_lshrrev_b64 v[0:1], v21, v[0:1]
	v_and_b32_e32 v23, 0, v23
	s_delay_alu instid0(VALU_DEP_1) | instskip(NEXT) | instid1(VALU_DEP_3)
	v_cmp_eq_u64_e64 s2, v[22:23], v[16:17]
	v_dual_mov_b32 v17, v1 :: v_dual_mov_b32 v16, v0
	s_delay_alu instid0(VALU_DEP_2)
	s_and_saveexec_b32 s9, s2
; %bb.348:
	v_bfe_u32 v16, v0, 20, 1
	s_delay_alu instid0(VALU_DEP_1) | instskip(NEXT) | instid1(VALU_DEP_1)
	v_add_co_u32 v16, s2, v0, v16
	v_add_co_u32 v16, s2, v16, -1
; %bb.349:
	s_or_b32 exec_lo, exec_lo, s9
	v_add_nc_u32_e32 v17, 0xffffff81, v20
	v_lshrrev_b32_e32 v20, 23, v0
	s_mov_b32 s2, exec_lo
	s_delay_alu instid0(VALU_DEP_2) | instskip(NEXT) | instid1(VALU_DEP_1)
	v_cndmask_b32_e64 v17, v17, 0xffffff82, vcc_lo
	v_add3_u32 v20, v21, v17, v20
	v_and_b32_e32 v17, 0xfffff, v16
	s_delay_alu instid0(VALU_DEP_2) | instskip(NEXT) | instid1(VALU_DEP_2)
	v_add_nc_u32_e32 v16, 6, v20
	v_add_co_u32 v0, vcc_lo, v17, v0
	v_add_co_ci_u32_e32 v1, vcc_lo, 0, v1, vcc_lo
                                        ; implicit-def: $vgpr17
	s_delay_alu instid0(VALU_DEP_3)
	v_cmpx_ne_u32_e32 0, v16
	s_xor_b32 s2, exec_lo, s2
; %bb.350:
	s_delay_alu instid0(VALU_DEP_2) | instskip(SKIP_1) | instid1(VALU_DEP_1)
	v_cmp_lt_u64_e32 vcc_lo, 0xffffff, v[0:1]
	v_add_nc_u32_e32 v17, 7, v20
	v_cndmask_b32_e32 v17, v16, v17, vcc_lo
	v_cndmask_b32_e64 v16, 0, 1, vcc_lo
	s_delay_alu instid0(VALU_DEP_1)
	v_lshrrev_b64 v[0:1], v16, v[0:1]
; %bb.351:
	s_and_not1_saveexec_b32 s2, s2
; %bb.352:
	s_delay_alu instid0(VALU_DEP_1)
	v_bfe_u32 v17, v0, 23, 1
; %bb.353:
	s_or_b32 exec_lo, exec_lo, s2
	s_delay_alu instid0(VALU_DEP_2) | instskip(NEXT) | instid1(VALU_DEP_2)
	v_lshrrev_b64 v[0:1], 20, v[0:1]
	v_cmp_gt_i32_e32 vcc_lo, 16, v17
	v_cmp_ne_u32_e64 s2, 0, v17
                                        ; implicit-def: $vgpr16
	s_delay_alu instid0(VALU_DEP_3) | instskip(NEXT) | instid1(VALU_DEP_1)
	v_dual_cndmask_b32 v1, 0, v1 :: v_dual_cndmask_b32 v0, 7, v0
	v_cmp_ne_u64_e32 vcc_lo, 0, v[0:1]
	s_delay_alu instid0(VALU_DEP_3) | instskip(NEXT) | instid1(SALU_CYCLE_1)
	s_or_b32 s2, s2, vcc_lo
	s_and_saveexec_b32 s9, s2
	s_delay_alu instid0(SALU_CYCLE_1)
	s_xor_b32 s2, exec_lo, s9
; %bb.354:
	v_min_i32_e32 v1, 15, v17
	s_delay_alu instid0(VALU_DEP_1) | instskip(NEXT) | instid1(VALU_DEP_1)
	v_lshl_or_b32 v1, v1, 3, v2
                                        ; implicit-def: $vgpr2
	v_and_or_b32 v16, v0, 7, v1
; %bb.355:
	s_and_not1_saveexec_b32 s2, s2
; %bb.356:
	v_mov_b32_e32 v16, v2
; %bb.357:
	s_or_b32 exec_lo, exec_lo, s2
.LBB12_358:
	s_delay_alu instid0(SALU_CYCLE_1)
	s_or_b32 exec_lo, exec_lo, s8
.LBB12_359:
	s_and_not1_saveexec_b32 s2, s5
	s_delay_alu instid0(SALU_CYCLE_1)
	s_or_b32 exec_lo, exec_lo, s2
                                        ; implicit-def: $vgpr20
                                        ; implicit-def: $vgpr0_vgpr1
.LBB12_360:
	s_and_not1_saveexec_b32 s2, s4
; %bb.361:
	v_cmp_eq_u64_e32 vcc_lo, 0, v[0:1]
	v_or_b32_e32 v2, 0x7f, v20
	s_delay_alu instid0(VALU_DEP_1)
	v_cndmask_b32_e32 v16, v2, v16, vcc_lo
; %bb.362:
	s_or_b32 exec_lo, exec_lo, s2
	v_dual_mul_f32 v0, s3, v3 :: v_dual_mov_b32 v1, 0
	s_mov_b32 s2, 0xc3e00000
	s_delay_alu instid0(VALU_DEP_1) | instid1(SALU_CYCLE_1)
	v_maxmin_f32 v2, v0, s2, 0x43e00000
	s_mov_b32 s2, exec_lo
	s_delay_alu instid0(VALU_DEP_2) | instskip(NEXT) | instid1(VALU_DEP_2)
	v_mov_b32_e32 v22, v1
	v_lshrrev_b32_e32 v3, 24, v2
	v_and_b32_e32 v21, 0x7f800000, v2
	v_and_b32_e32 v0, 0x7fffff, v2
	s_delay_alu instid0(VALU_DEP_3) | instskip(NEXT) | instid1(VALU_DEP_1)
	v_and_b32_e32 v20, 0x80, v3
	v_or_b32_e32 v17, 0x7e, v20
	s_delay_alu instid0(VALU_DEP_4)
	v_cmpx_ne_u64_e32 0x7f800000, v[21:22]
	s_xor_b32 s4, exec_lo, s2
	s_cbranch_execz .LBB12_378
; %bb.363:
	v_dual_mov_b32 v22, v1 :: v_dual_and_b32 v21, 0x7fffffff, v2
	s_mov_b32 s2, exec_lo
	s_delay_alu instid0(VALU_DEP_1)
	v_cmpx_gt_u64_e32 0x43e00001, v[21:22]
	s_xor_b32 s5, exec_lo, s2
	s_cbranch_execz .LBB12_377
; %bb.364:
	v_mov_b32_e32 v17, 0
	s_mov_b32 s8, exec_lo
	v_cmpx_ne_u32_e32 0, v2
	s_cbranch_execz .LBB12_376
; %bb.365:
	v_bfe_u32 v17, v2, 23, 8
	v_or_b32_e32 v22, 0x800000, v0
	s_delay_alu instid0(VALU_DEP_2) | instskip(SKIP_1) | instid1(VALU_DEP_2)
	v_sub_nc_u32_e32 v2, 0x79, v17
	v_cmp_gt_u32_e32 vcc_lo, 0x7a, v17
	v_cndmask_b32_e32 v2, 0, v2, vcc_lo
	v_cmp_eq_u32_e32 vcc_lo, 0, v17
	s_delay_alu instid0(VALU_DEP_2) | instskip(SKIP_1) | instid1(VALU_DEP_2)
	v_cndmask_b32_e64 v21, v2, 0x78, vcc_lo
	v_cndmask_b32_e32 v0, v22, v0, vcc_lo
	v_add_nc_u32_e32 v2, 20, v21
	v_add_nc_u32_e32 v22, 19, v21
	s_delay_alu instid0(VALU_DEP_2) | instskip(NEXT) | instid1(VALU_DEP_1)
	v_lshlrev_b64 v[2:3], v2, -1
	v_not_b32_e32 v24, v2
	s_delay_alu instid0(VALU_DEP_2) | instskip(NEXT) | instid1(VALU_DEP_4)
	v_not_b32_e32 v23, v3
	v_lshlrev_b64 v[2:3], v22, 1
	s_delay_alu instid0(VALU_DEP_3) | instskip(SKIP_1) | instid1(VALU_DEP_4)
	v_and_b32_e32 v22, v0, v24
	v_lshrrev_b64 v[0:1], v21, v[0:1]
	v_and_b32_e32 v23, 0, v23
	s_delay_alu instid0(VALU_DEP_1) | instskip(NEXT) | instid1(VALU_DEP_3)
	v_cmp_eq_u64_e64 s2, v[22:23], v[2:3]
	v_dual_mov_b32 v3, v1 :: v_dual_mov_b32 v2, v0
	s_delay_alu instid0(VALU_DEP_2)
	s_and_saveexec_b32 s9, s2
; %bb.366:
	v_bfe_u32 v2, v0, 20, 1
	s_delay_alu instid0(VALU_DEP_1) | instskip(NEXT) | instid1(VALU_DEP_1)
	v_add_co_u32 v2, s2, v0, v2
	v_add_co_u32 v2, s2, v2, -1
; %bb.367:
	s_or_b32 exec_lo, exec_lo, s9
	v_add_nc_u32_e32 v3, 0xffffff81, v17
	v_lshrrev_b32_e32 v17, 23, v0
	s_delay_alu instid0(VALU_DEP_3) | instskip(SKIP_1) | instid1(VALU_DEP_3)
	v_and_b32_e32 v2, 0xfffff, v2
	s_mov_b32 s2, exec_lo
	v_cndmask_b32_e64 v3, v3, 0xffffff82, vcc_lo
	s_delay_alu instid0(VALU_DEP_2) | instskip(SKIP_1) | instid1(VALU_DEP_3)
	v_add_co_u32 v0, vcc_lo, v2, v0
	v_add_co_ci_u32_e32 v1, vcc_lo, 0, v1, vcc_lo
	v_add3_u32 v3, v21, v3, v17
                                        ; implicit-def: $vgpr2
	s_delay_alu instid0(VALU_DEP_1) | instskip(NEXT) | instid1(VALU_DEP_1)
	v_add_nc_u32_e32 v17, 6, v3
	v_cmpx_ne_u32_e32 0, v17
	s_xor_b32 s2, exec_lo, s2
; %bb.368:
	v_cmp_lt_u64_e32 vcc_lo, 0xffffff, v[0:1]
	v_add_nc_u32_e32 v2, 7, v3
	v_cndmask_b32_e64 v3, 0, 1, vcc_lo
	s_delay_alu instid0(VALU_DEP_2) | instskip(NEXT) | instid1(VALU_DEP_2)
	v_cndmask_b32_e32 v2, v17, v2, vcc_lo
	v_lshrrev_b64 v[0:1], v3, v[0:1]
; %bb.369:
	s_and_not1_saveexec_b32 s2, s2
; %bb.370:
	s_delay_alu instid0(VALU_DEP_1)
	v_bfe_u32 v2, v0, 23, 1
; %bb.371:
	s_or_b32 exec_lo, exec_lo, s2
	s_delay_alu instid0(VALU_DEP_2) | instskip(NEXT) | instid1(VALU_DEP_2)
	v_lshrrev_b64 v[0:1], 20, v[0:1]
	v_cmp_gt_i32_e32 vcc_lo, 16, v2
	v_cmp_ne_u32_e64 s2, 0, v2
                                        ; implicit-def: $vgpr17
	s_delay_alu instid0(VALU_DEP_3) | instskip(NEXT) | instid1(VALU_DEP_1)
	v_dual_cndmask_b32 v1, 0, v1 :: v_dual_cndmask_b32 v0, 7, v0
	v_cmp_ne_u64_e32 vcc_lo, 0, v[0:1]
	s_delay_alu instid0(VALU_DEP_3) | instskip(NEXT) | instid1(SALU_CYCLE_1)
	s_or_b32 s2, s2, vcc_lo
	s_and_saveexec_b32 s9, s2
	s_delay_alu instid0(SALU_CYCLE_1)
	s_xor_b32 s2, exec_lo, s9
; %bb.372:
	v_min_i32_e32 v1, 15, v2
	s_delay_alu instid0(VALU_DEP_1) | instskip(NEXT) | instid1(VALU_DEP_1)
	v_lshl_or_b32 v1, v1, 3, v20
                                        ; implicit-def: $vgpr20
	v_and_or_b32 v17, v0, 7, v1
; %bb.373:
	s_and_not1_saveexec_b32 s2, s2
; %bb.374:
	v_mov_b32_e32 v17, v20
; %bb.375:
	s_or_b32 exec_lo, exec_lo, s2
.LBB12_376:
	s_delay_alu instid0(SALU_CYCLE_1)
	s_or_b32 exec_lo, exec_lo, s8
.LBB12_377:
	s_and_not1_saveexec_b32 s2, s5
	s_delay_alu instid0(SALU_CYCLE_1)
	s_or_b32 exec_lo, exec_lo, s2
                                        ; implicit-def: $vgpr3
                                        ; implicit-def: $vgpr0_vgpr1
.LBB12_378:
	s_and_not1_saveexec_b32 s2, s4
; %bb.379:
	v_cmp_eq_u64_e32 vcc_lo, 0, v[0:1]
	v_or_b32_e32 v2, 0x7f, v3
	s_delay_alu instid0(VALU_DEP_1)
	v_cndmask_b32_e32 v17, v2, v17, vcc_lo
; %bb.380:
	s_or_b32 exec_lo, exec_lo, s2
	v_dual_mul_f32 v0, s3, v4 :: v_dual_mov_b32 v1, 0
	s_mov_b32 s2, 0xc3e00000
	s_delay_alu instid0(VALU_DEP_1) | instid1(SALU_CYCLE_1)
	v_maxmin_f32 v2, v0, s2, 0x43e00000
	s_mov_b32 s2, exec_lo
	s_delay_alu instid0(VALU_DEP_2) | instskip(NEXT) | instid1(VALU_DEP_2)
	v_mov_b32_e32 v22, v1
	v_lshrrev_b32_e32 v3, 24, v2
	v_and_b32_e32 v21, 0x7f800000, v2
	v_and_b32_e32 v0, 0x7fffff, v2
	s_delay_alu instid0(VALU_DEP_3) | instskip(NEXT) | instid1(VALU_DEP_1)
	v_and_b32_e32 v20, 0x80, v3
	v_or_b32_e32 v4, 0x7e, v20
	s_delay_alu instid0(VALU_DEP_4)
	v_cmpx_ne_u64_e32 0x7f800000, v[21:22]
	s_xor_b32 s4, exec_lo, s2
	s_cbranch_execz .LBB12_396
; %bb.381:
	v_dual_mov_b32 v22, v1 :: v_dual_and_b32 v21, 0x7fffffff, v2
	s_mov_b32 s2, exec_lo
	s_delay_alu instid0(VALU_DEP_1)
	v_cmpx_gt_u64_e32 0x43e00001, v[21:22]
	s_xor_b32 s5, exec_lo, s2
	s_cbranch_execz .LBB12_395
; %bb.382:
	v_mov_b32_e32 v4, 0
	s_mov_b32 s8, exec_lo
	v_cmpx_ne_u32_e32 0, v2
	s_cbranch_execz .LBB12_394
; %bb.383:
	v_bfe_u32 v4, v2, 23, 8
	v_or_b32_e32 v22, 0x800000, v0
	s_delay_alu instid0(VALU_DEP_2) | instskip(SKIP_1) | instid1(VALU_DEP_2)
	v_sub_nc_u32_e32 v2, 0x79, v4
	v_cmp_gt_u32_e32 vcc_lo, 0x7a, v4
	v_cndmask_b32_e32 v2, 0, v2, vcc_lo
	v_cmp_eq_u32_e32 vcc_lo, 0, v4
	s_delay_alu instid0(VALU_DEP_2) | instskip(SKIP_1) | instid1(VALU_DEP_2)
	v_cndmask_b32_e64 v21, v2, 0x78, vcc_lo
	v_cndmask_b32_e32 v0, v22, v0, vcc_lo
	v_add_nc_u32_e32 v2, 20, v21
	v_add_nc_u32_e32 v22, 19, v21
	s_delay_alu instid0(VALU_DEP_2) | instskip(NEXT) | instid1(VALU_DEP_1)
	v_lshlrev_b64 v[2:3], v2, -1
	v_not_b32_e32 v24, v2
	s_delay_alu instid0(VALU_DEP_2) | instskip(NEXT) | instid1(VALU_DEP_4)
	v_not_b32_e32 v23, v3
	v_lshlrev_b64 v[2:3], v22, 1
	s_delay_alu instid0(VALU_DEP_3) | instskip(SKIP_1) | instid1(VALU_DEP_4)
	v_and_b32_e32 v22, v0, v24
	v_lshrrev_b64 v[0:1], v21, v[0:1]
	v_and_b32_e32 v23, 0, v23
	s_delay_alu instid0(VALU_DEP_1) | instskip(NEXT) | instid1(VALU_DEP_3)
	v_cmp_eq_u64_e64 s2, v[22:23], v[2:3]
	v_dual_mov_b32 v3, v1 :: v_dual_mov_b32 v2, v0
	s_delay_alu instid0(VALU_DEP_2)
	s_and_saveexec_b32 s9, s2
; %bb.384:
	v_bfe_u32 v2, v0, 20, 1
	s_delay_alu instid0(VALU_DEP_1) | instskip(NEXT) | instid1(VALU_DEP_1)
	v_add_co_u32 v2, s2, v0, v2
	v_add_co_u32 v2, s2, v2, -1
; %bb.385:
	s_or_b32 exec_lo, exec_lo, s9
	v_add_nc_u32_e32 v3, 0xffffff81, v4
	v_lshrrev_b32_e32 v4, 23, v0
	s_delay_alu instid0(VALU_DEP_3) | instskip(SKIP_1) | instid1(VALU_DEP_3)
	v_and_b32_e32 v2, 0xfffff, v2
	s_mov_b32 s2, exec_lo
	v_cndmask_b32_e64 v3, v3, 0xffffff82, vcc_lo
	s_delay_alu instid0(VALU_DEP_2) | instskip(SKIP_1) | instid1(VALU_DEP_3)
	v_add_co_u32 v0, vcc_lo, v2, v0
	v_add_co_ci_u32_e32 v1, vcc_lo, 0, v1, vcc_lo
	v_add3_u32 v3, v21, v3, v4
                                        ; implicit-def: $vgpr2
	s_delay_alu instid0(VALU_DEP_1) | instskip(NEXT) | instid1(VALU_DEP_1)
	v_add_nc_u32_e32 v4, 6, v3
	v_cmpx_ne_u32_e32 0, v4
	s_xor_b32 s2, exec_lo, s2
; %bb.386:
	v_cmp_lt_u64_e32 vcc_lo, 0xffffff, v[0:1]
	v_add_nc_u32_e32 v2, 7, v3
	v_cndmask_b32_e64 v3, 0, 1, vcc_lo
	s_delay_alu instid0(VALU_DEP_2) | instskip(NEXT) | instid1(VALU_DEP_2)
	v_cndmask_b32_e32 v2, v4, v2, vcc_lo
	v_lshrrev_b64 v[0:1], v3, v[0:1]
; %bb.387:
	s_and_not1_saveexec_b32 s2, s2
; %bb.388:
	s_delay_alu instid0(VALU_DEP_1)
	v_bfe_u32 v2, v0, 23, 1
; %bb.389:
	s_or_b32 exec_lo, exec_lo, s2
	s_delay_alu instid0(VALU_DEP_2) | instskip(NEXT) | instid1(VALU_DEP_2)
	v_lshrrev_b64 v[0:1], 20, v[0:1]
	v_cmp_gt_i32_e32 vcc_lo, 16, v2
	v_cmp_ne_u32_e64 s2, 0, v2
                                        ; implicit-def: $vgpr4
	s_delay_alu instid0(VALU_DEP_3) | instskip(NEXT) | instid1(VALU_DEP_1)
	v_dual_cndmask_b32 v1, 0, v1 :: v_dual_cndmask_b32 v0, 7, v0
	v_cmp_ne_u64_e32 vcc_lo, 0, v[0:1]
	s_delay_alu instid0(VALU_DEP_3) | instskip(NEXT) | instid1(SALU_CYCLE_1)
	s_or_b32 s2, s2, vcc_lo
	s_and_saveexec_b32 s9, s2
	s_delay_alu instid0(SALU_CYCLE_1)
	s_xor_b32 s2, exec_lo, s9
; %bb.390:
	v_min_i32_e32 v1, 15, v2
	s_delay_alu instid0(VALU_DEP_1) | instskip(NEXT) | instid1(VALU_DEP_1)
	v_lshl_or_b32 v1, v1, 3, v20
                                        ; implicit-def: $vgpr20
	v_and_or_b32 v4, v0, 7, v1
; %bb.391:
	s_and_not1_saveexec_b32 s2, s2
; %bb.392:
	v_mov_b32_e32 v4, v20
; %bb.393:
	s_or_b32 exec_lo, exec_lo, s2
.LBB12_394:
	s_delay_alu instid0(SALU_CYCLE_1)
	s_or_b32 exec_lo, exec_lo, s8
.LBB12_395:
	s_and_not1_saveexec_b32 s2, s5
	s_delay_alu instid0(SALU_CYCLE_1)
	s_or_b32 exec_lo, exec_lo, s2
                                        ; implicit-def: $vgpr3
                                        ; implicit-def: $vgpr0_vgpr1
.LBB12_396:
	s_and_not1_saveexec_b32 s2, s4
; %bb.397:
	v_cmp_eq_u64_e32 vcc_lo, 0, v[0:1]
	v_or_b32_e32 v2, 0x7f, v3
	s_delay_alu instid0(VALU_DEP_1)
	v_cndmask_b32_e32 v4, v2, v4, vcc_lo
; %bb.398:
	s_or_b32 exec_lo, exec_lo, s2
	v_dual_mul_f32 v0, s3, v5 :: v_dual_mov_b32 v1, 0
	s_mov_b32 s2, 0xc3e00000
	s_delay_alu instid0(VALU_DEP_1) | instid1(SALU_CYCLE_1)
	v_maxmin_f32 v2, v0, s2, 0x43e00000
	s_mov_b32 s2, exec_lo
	s_delay_alu instid0(VALU_DEP_2) | instskip(NEXT) | instid1(VALU_DEP_2)
	v_mov_b32_e32 v22, v1
	v_lshrrev_b32_e32 v3, 24, v2
	v_and_b32_e32 v21, 0x7f800000, v2
	v_and_b32_e32 v0, 0x7fffff, v2
	s_delay_alu instid0(VALU_DEP_3) | instskip(NEXT) | instid1(VALU_DEP_1)
	v_and_b32_e32 v20, 0x80, v3
	v_or_b32_e32 v5, 0x7e, v20
	s_delay_alu instid0(VALU_DEP_4)
	v_cmpx_ne_u64_e32 0x7f800000, v[21:22]
	s_xor_b32 s4, exec_lo, s2
	s_cbranch_execz .LBB12_414
; %bb.399:
	v_dual_mov_b32 v22, v1 :: v_dual_and_b32 v21, 0x7fffffff, v2
	s_mov_b32 s2, exec_lo
	s_delay_alu instid0(VALU_DEP_1)
	v_cmpx_gt_u64_e32 0x43e00001, v[21:22]
	s_xor_b32 s5, exec_lo, s2
	s_cbranch_execz .LBB12_413
; %bb.400:
	v_mov_b32_e32 v5, 0
	s_mov_b32 s8, exec_lo
	v_cmpx_ne_u32_e32 0, v2
	s_cbranch_execz .LBB12_412
; %bb.401:
	v_bfe_u32 v5, v2, 23, 8
	v_or_b32_e32 v22, 0x800000, v0
	s_delay_alu instid0(VALU_DEP_2) | instskip(SKIP_1) | instid1(VALU_DEP_2)
	v_sub_nc_u32_e32 v2, 0x79, v5
	v_cmp_gt_u32_e32 vcc_lo, 0x7a, v5
	v_cndmask_b32_e32 v2, 0, v2, vcc_lo
	v_cmp_eq_u32_e32 vcc_lo, 0, v5
	s_delay_alu instid0(VALU_DEP_2) | instskip(SKIP_1) | instid1(VALU_DEP_2)
	v_cndmask_b32_e64 v21, v2, 0x78, vcc_lo
	v_cndmask_b32_e32 v0, v22, v0, vcc_lo
	v_add_nc_u32_e32 v2, 20, v21
	v_add_nc_u32_e32 v22, 19, v21
	s_delay_alu instid0(VALU_DEP_2) | instskip(NEXT) | instid1(VALU_DEP_1)
	v_lshlrev_b64 v[2:3], v2, -1
	v_not_b32_e32 v24, v2
	s_delay_alu instid0(VALU_DEP_2) | instskip(NEXT) | instid1(VALU_DEP_4)
	v_not_b32_e32 v23, v3
	v_lshlrev_b64 v[2:3], v22, 1
	s_delay_alu instid0(VALU_DEP_3) | instskip(SKIP_1) | instid1(VALU_DEP_4)
	v_and_b32_e32 v22, v0, v24
	v_lshrrev_b64 v[0:1], v21, v[0:1]
	v_and_b32_e32 v23, 0, v23
	s_delay_alu instid0(VALU_DEP_1) | instskip(NEXT) | instid1(VALU_DEP_3)
	v_cmp_eq_u64_e64 s2, v[22:23], v[2:3]
	v_dual_mov_b32 v3, v1 :: v_dual_mov_b32 v2, v0
	s_delay_alu instid0(VALU_DEP_2)
	s_and_saveexec_b32 s9, s2
; %bb.402:
	v_bfe_u32 v2, v0, 20, 1
	s_delay_alu instid0(VALU_DEP_1) | instskip(NEXT) | instid1(VALU_DEP_1)
	v_add_co_u32 v2, s2, v0, v2
	v_add_co_u32 v2, s2, v2, -1
; %bb.403:
	s_or_b32 exec_lo, exec_lo, s9
	v_add_nc_u32_e32 v3, 0xffffff81, v5
	v_lshrrev_b32_e32 v5, 23, v0
	s_delay_alu instid0(VALU_DEP_3) | instskip(SKIP_1) | instid1(VALU_DEP_3)
	v_and_b32_e32 v2, 0xfffff, v2
	s_mov_b32 s2, exec_lo
	v_cndmask_b32_e64 v3, v3, 0xffffff82, vcc_lo
	s_delay_alu instid0(VALU_DEP_2) | instskip(SKIP_1) | instid1(VALU_DEP_3)
	v_add_co_u32 v0, vcc_lo, v2, v0
	v_add_co_ci_u32_e32 v1, vcc_lo, 0, v1, vcc_lo
	v_add3_u32 v3, v21, v3, v5
                                        ; implicit-def: $vgpr2
	s_delay_alu instid0(VALU_DEP_1) | instskip(NEXT) | instid1(VALU_DEP_1)
	v_add_nc_u32_e32 v5, 6, v3
	v_cmpx_ne_u32_e32 0, v5
	s_xor_b32 s2, exec_lo, s2
; %bb.404:
	v_cmp_lt_u64_e32 vcc_lo, 0xffffff, v[0:1]
	v_add_nc_u32_e32 v2, 7, v3
	v_cndmask_b32_e64 v3, 0, 1, vcc_lo
	s_delay_alu instid0(VALU_DEP_2) | instskip(NEXT) | instid1(VALU_DEP_2)
	v_cndmask_b32_e32 v2, v5, v2, vcc_lo
	v_lshrrev_b64 v[0:1], v3, v[0:1]
; %bb.405:
	s_and_not1_saveexec_b32 s2, s2
; %bb.406:
	s_delay_alu instid0(VALU_DEP_1)
	v_bfe_u32 v2, v0, 23, 1
; %bb.407:
	s_or_b32 exec_lo, exec_lo, s2
	s_delay_alu instid0(VALU_DEP_2) | instskip(NEXT) | instid1(VALU_DEP_2)
	v_lshrrev_b64 v[0:1], 20, v[0:1]
	v_cmp_gt_i32_e32 vcc_lo, 16, v2
	v_cmp_ne_u32_e64 s2, 0, v2
                                        ; implicit-def: $vgpr5
	s_delay_alu instid0(VALU_DEP_3) | instskip(NEXT) | instid1(VALU_DEP_1)
	v_dual_cndmask_b32 v1, 0, v1 :: v_dual_cndmask_b32 v0, 7, v0
	v_cmp_ne_u64_e32 vcc_lo, 0, v[0:1]
	s_delay_alu instid0(VALU_DEP_3) | instskip(NEXT) | instid1(SALU_CYCLE_1)
	s_or_b32 s2, s2, vcc_lo
	s_and_saveexec_b32 s9, s2
	s_delay_alu instid0(SALU_CYCLE_1)
	s_xor_b32 s2, exec_lo, s9
; %bb.408:
	v_min_i32_e32 v1, 15, v2
	s_delay_alu instid0(VALU_DEP_1) | instskip(NEXT) | instid1(VALU_DEP_1)
	v_lshl_or_b32 v1, v1, 3, v20
                                        ; implicit-def: $vgpr20
	v_and_or_b32 v5, v0, 7, v1
; %bb.409:
	s_and_not1_saveexec_b32 s2, s2
; %bb.410:
	v_mov_b32_e32 v5, v20
; %bb.411:
	s_or_b32 exec_lo, exec_lo, s2
.LBB12_412:
	s_delay_alu instid0(SALU_CYCLE_1)
	s_or_b32 exec_lo, exec_lo, s8
.LBB12_413:
	s_and_not1_saveexec_b32 s2, s5
	s_delay_alu instid0(SALU_CYCLE_1)
	s_or_b32 exec_lo, exec_lo, s2
                                        ; implicit-def: $vgpr3
                                        ; implicit-def: $vgpr0_vgpr1
.LBB12_414:
	s_and_not1_saveexec_b32 s2, s4
; %bb.415:
	v_cmp_eq_u64_e32 vcc_lo, 0, v[0:1]
	v_or_b32_e32 v2, 0x7f, v3
	s_delay_alu instid0(VALU_DEP_1)
	v_cndmask_b32_e32 v5, v2, v5, vcc_lo
; %bb.416:
	s_or_b32 exec_lo, exec_lo, s2
	v_dual_mul_f32 v0, s3, v6 :: v_dual_mov_b32 v1, 0
	s_mov_b32 s2, 0xc3e00000
	s_delay_alu instid0(VALU_DEP_1) | instid1(SALU_CYCLE_1)
	v_maxmin_f32 v2, v0, s2, 0x43e00000
	s_mov_b32 s2, exec_lo
	s_delay_alu instid0(VALU_DEP_2) | instskip(NEXT) | instid1(VALU_DEP_2)
	v_mov_b32_e32 v22, v1
	v_lshrrev_b32_e32 v3, 24, v2
	v_and_b32_e32 v21, 0x7f800000, v2
	v_and_b32_e32 v0, 0x7fffff, v2
	s_delay_alu instid0(VALU_DEP_3) | instskip(NEXT) | instid1(VALU_DEP_1)
	v_and_b32_e32 v20, 0x80, v3
	v_or_b32_e32 v6, 0x7e, v20
	s_delay_alu instid0(VALU_DEP_4)
	v_cmpx_ne_u64_e32 0x7f800000, v[21:22]
	s_xor_b32 s4, exec_lo, s2
	s_cbranch_execz .LBB12_432
; %bb.417:
	v_dual_mov_b32 v22, v1 :: v_dual_and_b32 v21, 0x7fffffff, v2
	s_mov_b32 s2, exec_lo
	s_delay_alu instid0(VALU_DEP_1)
	v_cmpx_gt_u64_e32 0x43e00001, v[21:22]
	s_xor_b32 s5, exec_lo, s2
	s_cbranch_execz .LBB12_431
; %bb.418:
	v_mov_b32_e32 v6, 0
	s_mov_b32 s8, exec_lo
	v_cmpx_ne_u32_e32 0, v2
	s_cbranch_execz .LBB12_430
; %bb.419:
	v_bfe_u32 v6, v2, 23, 8
	v_or_b32_e32 v22, 0x800000, v0
	s_delay_alu instid0(VALU_DEP_2) | instskip(SKIP_1) | instid1(VALU_DEP_2)
	v_sub_nc_u32_e32 v2, 0x79, v6
	v_cmp_gt_u32_e32 vcc_lo, 0x7a, v6
	v_cndmask_b32_e32 v2, 0, v2, vcc_lo
	v_cmp_eq_u32_e32 vcc_lo, 0, v6
	s_delay_alu instid0(VALU_DEP_2) | instskip(SKIP_1) | instid1(VALU_DEP_2)
	v_cndmask_b32_e64 v21, v2, 0x78, vcc_lo
	v_cndmask_b32_e32 v0, v22, v0, vcc_lo
	v_add_nc_u32_e32 v2, 20, v21
	v_add_nc_u32_e32 v22, 19, v21
	s_delay_alu instid0(VALU_DEP_2) | instskip(NEXT) | instid1(VALU_DEP_1)
	v_lshlrev_b64 v[2:3], v2, -1
	v_not_b32_e32 v24, v2
	s_delay_alu instid0(VALU_DEP_2) | instskip(NEXT) | instid1(VALU_DEP_4)
	v_not_b32_e32 v23, v3
	v_lshlrev_b64 v[2:3], v22, 1
	s_delay_alu instid0(VALU_DEP_3) | instskip(SKIP_1) | instid1(VALU_DEP_4)
	v_and_b32_e32 v22, v0, v24
	v_lshrrev_b64 v[0:1], v21, v[0:1]
	v_and_b32_e32 v23, 0, v23
	s_delay_alu instid0(VALU_DEP_1) | instskip(NEXT) | instid1(VALU_DEP_3)
	v_cmp_eq_u64_e64 s2, v[22:23], v[2:3]
	v_dual_mov_b32 v3, v1 :: v_dual_mov_b32 v2, v0
	s_delay_alu instid0(VALU_DEP_2)
	s_and_saveexec_b32 s9, s2
; %bb.420:
	v_bfe_u32 v2, v0, 20, 1
	s_delay_alu instid0(VALU_DEP_1) | instskip(NEXT) | instid1(VALU_DEP_1)
	v_add_co_u32 v2, s2, v0, v2
	v_add_co_u32 v2, s2, v2, -1
; %bb.421:
	s_or_b32 exec_lo, exec_lo, s9
	v_add_nc_u32_e32 v3, 0xffffff81, v6
	v_lshrrev_b32_e32 v6, 23, v0
	s_delay_alu instid0(VALU_DEP_3) | instskip(SKIP_1) | instid1(VALU_DEP_3)
	v_and_b32_e32 v2, 0xfffff, v2
	s_mov_b32 s2, exec_lo
	v_cndmask_b32_e64 v3, v3, 0xffffff82, vcc_lo
	s_delay_alu instid0(VALU_DEP_2) | instskip(SKIP_1) | instid1(VALU_DEP_3)
	v_add_co_u32 v0, vcc_lo, v2, v0
	v_add_co_ci_u32_e32 v1, vcc_lo, 0, v1, vcc_lo
	v_add3_u32 v3, v21, v3, v6
                                        ; implicit-def: $vgpr2
	s_delay_alu instid0(VALU_DEP_1) | instskip(NEXT) | instid1(VALU_DEP_1)
	v_add_nc_u32_e32 v6, 6, v3
	v_cmpx_ne_u32_e32 0, v6
	s_xor_b32 s2, exec_lo, s2
; %bb.422:
	v_cmp_lt_u64_e32 vcc_lo, 0xffffff, v[0:1]
	v_add_nc_u32_e32 v2, 7, v3
	v_cndmask_b32_e64 v3, 0, 1, vcc_lo
	s_delay_alu instid0(VALU_DEP_2) | instskip(NEXT) | instid1(VALU_DEP_2)
	v_cndmask_b32_e32 v2, v6, v2, vcc_lo
	v_lshrrev_b64 v[0:1], v3, v[0:1]
; %bb.423:
	s_and_not1_saveexec_b32 s2, s2
; %bb.424:
	s_delay_alu instid0(VALU_DEP_1)
	v_bfe_u32 v2, v0, 23, 1
; %bb.425:
	s_or_b32 exec_lo, exec_lo, s2
	s_delay_alu instid0(VALU_DEP_2) | instskip(NEXT) | instid1(VALU_DEP_2)
	v_lshrrev_b64 v[0:1], 20, v[0:1]
	v_cmp_gt_i32_e32 vcc_lo, 16, v2
	v_cmp_ne_u32_e64 s2, 0, v2
                                        ; implicit-def: $vgpr6
	s_delay_alu instid0(VALU_DEP_3) | instskip(NEXT) | instid1(VALU_DEP_1)
	v_dual_cndmask_b32 v1, 0, v1 :: v_dual_cndmask_b32 v0, 7, v0
	v_cmp_ne_u64_e32 vcc_lo, 0, v[0:1]
	s_delay_alu instid0(VALU_DEP_3) | instskip(NEXT) | instid1(SALU_CYCLE_1)
	s_or_b32 s2, s2, vcc_lo
	s_and_saveexec_b32 s9, s2
	s_delay_alu instid0(SALU_CYCLE_1)
	s_xor_b32 s2, exec_lo, s9
; %bb.426:
	v_min_i32_e32 v1, 15, v2
	s_delay_alu instid0(VALU_DEP_1) | instskip(NEXT) | instid1(VALU_DEP_1)
	v_lshl_or_b32 v1, v1, 3, v20
                                        ; implicit-def: $vgpr20
	v_and_or_b32 v6, v0, 7, v1
; %bb.427:
	s_and_not1_saveexec_b32 s2, s2
; %bb.428:
	v_mov_b32_e32 v6, v20
; %bb.429:
	s_or_b32 exec_lo, exec_lo, s2
.LBB12_430:
	s_delay_alu instid0(SALU_CYCLE_1)
	s_or_b32 exec_lo, exec_lo, s8
.LBB12_431:
	s_and_not1_saveexec_b32 s2, s5
	s_delay_alu instid0(SALU_CYCLE_1)
	s_or_b32 exec_lo, exec_lo, s2
                                        ; implicit-def: $vgpr3
                                        ; implicit-def: $vgpr0_vgpr1
.LBB12_432:
	s_and_not1_saveexec_b32 s2, s4
; %bb.433:
	v_cmp_eq_u64_e32 vcc_lo, 0, v[0:1]
	v_or_b32_e32 v2, 0x7f, v3
	s_delay_alu instid0(VALU_DEP_1)
	v_cndmask_b32_e32 v6, v2, v6, vcc_lo
; %bb.434:
	s_or_b32 exec_lo, exec_lo, s2
	v_dual_mul_f32 v0, s3, v7 :: v_dual_mov_b32 v1, 0
	s_mov_b32 s2, 0xc3e00000
	s_delay_alu instid0(VALU_DEP_1) | instid1(SALU_CYCLE_1)
	v_maxmin_f32 v2, v0, s2, 0x43e00000
	s_mov_b32 s2, exec_lo
	s_delay_alu instid0(VALU_DEP_2) | instskip(NEXT) | instid1(VALU_DEP_2)
	v_mov_b32_e32 v22, v1
	v_lshrrev_b32_e32 v3, 24, v2
	v_and_b32_e32 v21, 0x7f800000, v2
	v_and_b32_e32 v0, 0x7fffff, v2
	s_delay_alu instid0(VALU_DEP_3) | instskip(NEXT) | instid1(VALU_DEP_1)
	v_and_b32_e32 v20, 0x80, v3
	v_or_b32_e32 v7, 0x7e, v20
	s_delay_alu instid0(VALU_DEP_4)
	v_cmpx_ne_u64_e32 0x7f800000, v[21:22]
	s_xor_b32 s4, exec_lo, s2
	s_cbranch_execz .LBB12_450
; %bb.435:
	v_dual_mov_b32 v22, v1 :: v_dual_and_b32 v21, 0x7fffffff, v2
	s_mov_b32 s2, exec_lo
	s_delay_alu instid0(VALU_DEP_1)
	v_cmpx_gt_u64_e32 0x43e00001, v[21:22]
	s_xor_b32 s5, exec_lo, s2
	s_cbranch_execz .LBB12_449
; %bb.436:
	v_mov_b32_e32 v7, 0
	s_mov_b32 s8, exec_lo
	v_cmpx_ne_u32_e32 0, v2
	s_cbranch_execz .LBB12_448
; %bb.437:
	v_bfe_u32 v7, v2, 23, 8
	v_or_b32_e32 v22, 0x800000, v0
	s_delay_alu instid0(VALU_DEP_2) | instskip(SKIP_1) | instid1(VALU_DEP_2)
	v_sub_nc_u32_e32 v2, 0x79, v7
	v_cmp_gt_u32_e32 vcc_lo, 0x7a, v7
	v_cndmask_b32_e32 v2, 0, v2, vcc_lo
	v_cmp_eq_u32_e32 vcc_lo, 0, v7
	s_delay_alu instid0(VALU_DEP_2) | instskip(SKIP_1) | instid1(VALU_DEP_2)
	v_cndmask_b32_e64 v21, v2, 0x78, vcc_lo
	v_cndmask_b32_e32 v0, v22, v0, vcc_lo
	v_add_nc_u32_e32 v2, 20, v21
	v_add_nc_u32_e32 v22, 19, v21
	s_delay_alu instid0(VALU_DEP_2) | instskip(NEXT) | instid1(VALU_DEP_1)
	v_lshlrev_b64 v[2:3], v2, -1
	v_not_b32_e32 v24, v2
	s_delay_alu instid0(VALU_DEP_2) | instskip(NEXT) | instid1(VALU_DEP_4)
	v_not_b32_e32 v23, v3
	v_lshlrev_b64 v[2:3], v22, 1
	s_delay_alu instid0(VALU_DEP_3) | instskip(SKIP_1) | instid1(VALU_DEP_4)
	v_and_b32_e32 v22, v0, v24
	v_lshrrev_b64 v[0:1], v21, v[0:1]
	v_and_b32_e32 v23, 0, v23
	s_delay_alu instid0(VALU_DEP_1) | instskip(NEXT) | instid1(VALU_DEP_3)
	v_cmp_eq_u64_e64 s2, v[22:23], v[2:3]
	v_dual_mov_b32 v3, v1 :: v_dual_mov_b32 v2, v0
	s_delay_alu instid0(VALU_DEP_2)
	s_and_saveexec_b32 s9, s2
; %bb.438:
	v_bfe_u32 v2, v0, 20, 1
	s_delay_alu instid0(VALU_DEP_1) | instskip(NEXT) | instid1(VALU_DEP_1)
	v_add_co_u32 v2, s2, v0, v2
	v_add_co_u32 v2, s2, v2, -1
; %bb.439:
	s_or_b32 exec_lo, exec_lo, s9
	v_add_nc_u32_e32 v3, 0xffffff81, v7
	v_lshrrev_b32_e32 v7, 23, v0
	s_delay_alu instid0(VALU_DEP_3) | instskip(SKIP_1) | instid1(VALU_DEP_3)
	v_and_b32_e32 v2, 0xfffff, v2
	s_mov_b32 s2, exec_lo
	v_cndmask_b32_e64 v3, v3, 0xffffff82, vcc_lo
	s_delay_alu instid0(VALU_DEP_2) | instskip(SKIP_1) | instid1(VALU_DEP_3)
	v_add_co_u32 v0, vcc_lo, v2, v0
	v_add_co_ci_u32_e32 v1, vcc_lo, 0, v1, vcc_lo
	v_add3_u32 v3, v21, v3, v7
                                        ; implicit-def: $vgpr2
	s_delay_alu instid0(VALU_DEP_1) | instskip(NEXT) | instid1(VALU_DEP_1)
	v_add_nc_u32_e32 v7, 6, v3
	v_cmpx_ne_u32_e32 0, v7
	s_xor_b32 s2, exec_lo, s2
; %bb.440:
	v_cmp_lt_u64_e32 vcc_lo, 0xffffff, v[0:1]
	v_add_nc_u32_e32 v2, 7, v3
	v_cndmask_b32_e64 v3, 0, 1, vcc_lo
	s_delay_alu instid0(VALU_DEP_2) | instskip(NEXT) | instid1(VALU_DEP_2)
	v_cndmask_b32_e32 v2, v7, v2, vcc_lo
	v_lshrrev_b64 v[0:1], v3, v[0:1]
; %bb.441:
	s_and_not1_saveexec_b32 s2, s2
; %bb.442:
	s_delay_alu instid0(VALU_DEP_1)
	v_bfe_u32 v2, v0, 23, 1
; %bb.443:
	s_or_b32 exec_lo, exec_lo, s2
	s_delay_alu instid0(VALU_DEP_2) | instskip(NEXT) | instid1(VALU_DEP_2)
	v_lshrrev_b64 v[0:1], 20, v[0:1]
	v_cmp_gt_i32_e32 vcc_lo, 16, v2
	v_cmp_ne_u32_e64 s2, 0, v2
                                        ; implicit-def: $vgpr7
	s_delay_alu instid0(VALU_DEP_3) | instskip(NEXT) | instid1(VALU_DEP_1)
	v_dual_cndmask_b32 v1, 0, v1 :: v_dual_cndmask_b32 v0, 7, v0
	v_cmp_ne_u64_e32 vcc_lo, 0, v[0:1]
	s_delay_alu instid0(VALU_DEP_3) | instskip(NEXT) | instid1(SALU_CYCLE_1)
	s_or_b32 s2, s2, vcc_lo
	s_and_saveexec_b32 s9, s2
	s_delay_alu instid0(SALU_CYCLE_1)
	s_xor_b32 s2, exec_lo, s9
; %bb.444:
	v_min_i32_e32 v1, 15, v2
	s_delay_alu instid0(VALU_DEP_1) | instskip(NEXT) | instid1(VALU_DEP_1)
	v_lshl_or_b32 v1, v1, 3, v20
                                        ; implicit-def: $vgpr20
	v_and_or_b32 v7, v0, 7, v1
; %bb.445:
	s_and_not1_saveexec_b32 s2, s2
; %bb.446:
	v_mov_b32_e32 v7, v20
; %bb.447:
	s_or_b32 exec_lo, exec_lo, s2
.LBB12_448:
	s_delay_alu instid0(SALU_CYCLE_1)
	s_or_b32 exec_lo, exec_lo, s8
.LBB12_449:
	s_and_not1_saveexec_b32 s2, s5
	s_delay_alu instid0(SALU_CYCLE_1)
	s_or_b32 exec_lo, exec_lo, s2
                                        ; implicit-def: $vgpr3
                                        ; implicit-def: $vgpr0_vgpr1
.LBB12_450:
	s_and_not1_saveexec_b32 s2, s4
; %bb.451:
	v_cmp_eq_u64_e32 vcc_lo, 0, v[0:1]
	v_or_b32_e32 v2, 0x7f, v3
	s_delay_alu instid0(VALU_DEP_1)
	v_cndmask_b32_e32 v7, v2, v7, vcc_lo
; %bb.452:
	s_or_b32 exec_lo, exec_lo, s2
	v_dual_mul_f32 v0, s3, v8 :: v_dual_mov_b32 v1, 0
	s_mov_b32 s2, 0xc3e00000
	s_delay_alu instid0(VALU_DEP_1) | instid1(SALU_CYCLE_1)
	v_maxmin_f32 v2, v0, s2, 0x43e00000
	s_mov_b32 s2, exec_lo
	s_delay_alu instid0(VALU_DEP_2) | instskip(NEXT) | instid1(VALU_DEP_2)
	v_mov_b32_e32 v22, v1
	v_lshrrev_b32_e32 v3, 24, v2
	v_and_b32_e32 v21, 0x7f800000, v2
	v_and_b32_e32 v0, 0x7fffff, v2
	s_delay_alu instid0(VALU_DEP_3) | instskip(NEXT) | instid1(VALU_DEP_1)
	v_and_b32_e32 v20, 0x80, v3
	v_or_b32_e32 v8, 0x7e, v20
	s_delay_alu instid0(VALU_DEP_4)
	v_cmpx_ne_u64_e32 0x7f800000, v[21:22]
	s_xor_b32 s4, exec_lo, s2
	s_cbranch_execz .LBB12_468
; %bb.453:
	v_dual_mov_b32 v22, v1 :: v_dual_and_b32 v21, 0x7fffffff, v2
	s_mov_b32 s2, exec_lo
	s_delay_alu instid0(VALU_DEP_1)
	v_cmpx_gt_u64_e32 0x43e00001, v[21:22]
	s_xor_b32 s5, exec_lo, s2
	s_cbranch_execz .LBB12_467
; %bb.454:
	v_mov_b32_e32 v8, 0
	s_mov_b32 s8, exec_lo
	v_cmpx_ne_u32_e32 0, v2
	s_cbranch_execz .LBB12_466
; %bb.455:
	v_bfe_u32 v8, v2, 23, 8
	v_or_b32_e32 v22, 0x800000, v0
	s_delay_alu instid0(VALU_DEP_2) | instskip(SKIP_1) | instid1(VALU_DEP_2)
	v_sub_nc_u32_e32 v2, 0x79, v8
	v_cmp_gt_u32_e32 vcc_lo, 0x7a, v8
	v_cndmask_b32_e32 v2, 0, v2, vcc_lo
	v_cmp_eq_u32_e32 vcc_lo, 0, v8
	s_delay_alu instid0(VALU_DEP_2) | instskip(SKIP_1) | instid1(VALU_DEP_2)
	v_cndmask_b32_e64 v21, v2, 0x78, vcc_lo
	v_cndmask_b32_e32 v0, v22, v0, vcc_lo
	v_add_nc_u32_e32 v2, 20, v21
	v_add_nc_u32_e32 v22, 19, v21
	s_delay_alu instid0(VALU_DEP_2) | instskip(NEXT) | instid1(VALU_DEP_1)
	v_lshlrev_b64 v[2:3], v2, -1
	v_not_b32_e32 v24, v2
	s_delay_alu instid0(VALU_DEP_2) | instskip(NEXT) | instid1(VALU_DEP_4)
	v_not_b32_e32 v23, v3
	v_lshlrev_b64 v[2:3], v22, 1
	s_delay_alu instid0(VALU_DEP_3) | instskip(SKIP_1) | instid1(VALU_DEP_4)
	v_and_b32_e32 v22, v0, v24
	v_lshrrev_b64 v[0:1], v21, v[0:1]
	v_and_b32_e32 v23, 0, v23
	s_delay_alu instid0(VALU_DEP_1) | instskip(NEXT) | instid1(VALU_DEP_3)
	v_cmp_eq_u64_e64 s2, v[22:23], v[2:3]
	v_dual_mov_b32 v3, v1 :: v_dual_mov_b32 v2, v0
	s_delay_alu instid0(VALU_DEP_2)
	s_and_saveexec_b32 s9, s2
; %bb.456:
	v_bfe_u32 v2, v0, 20, 1
	s_delay_alu instid0(VALU_DEP_1) | instskip(NEXT) | instid1(VALU_DEP_1)
	v_add_co_u32 v2, s2, v0, v2
	v_add_co_u32 v2, s2, v2, -1
; %bb.457:
	s_or_b32 exec_lo, exec_lo, s9
	v_add_nc_u32_e32 v3, 0xffffff81, v8
	v_lshrrev_b32_e32 v8, 23, v0
	s_delay_alu instid0(VALU_DEP_3) | instskip(SKIP_1) | instid1(VALU_DEP_3)
	v_and_b32_e32 v2, 0xfffff, v2
	s_mov_b32 s2, exec_lo
	v_cndmask_b32_e64 v3, v3, 0xffffff82, vcc_lo
	s_delay_alu instid0(VALU_DEP_2) | instskip(SKIP_1) | instid1(VALU_DEP_3)
	v_add_co_u32 v0, vcc_lo, v2, v0
	v_add_co_ci_u32_e32 v1, vcc_lo, 0, v1, vcc_lo
	v_add3_u32 v3, v21, v3, v8
                                        ; implicit-def: $vgpr2
	s_delay_alu instid0(VALU_DEP_1) | instskip(NEXT) | instid1(VALU_DEP_1)
	v_add_nc_u32_e32 v8, 6, v3
	v_cmpx_ne_u32_e32 0, v8
	s_xor_b32 s2, exec_lo, s2
; %bb.458:
	v_cmp_lt_u64_e32 vcc_lo, 0xffffff, v[0:1]
	v_add_nc_u32_e32 v2, 7, v3
	v_cndmask_b32_e64 v3, 0, 1, vcc_lo
	s_delay_alu instid0(VALU_DEP_2) | instskip(NEXT) | instid1(VALU_DEP_2)
	v_cndmask_b32_e32 v2, v8, v2, vcc_lo
	v_lshrrev_b64 v[0:1], v3, v[0:1]
; %bb.459:
	s_and_not1_saveexec_b32 s2, s2
; %bb.460:
	s_delay_alu instid0(VALU_DEP_1)
	v_bfe_u32 v2, v0, 23, 1
; %bb.461:
	s_or_b32 exec_lo, exec_lo, s2
	s_delay_alu instid0(VALU_DEP_2) | instskip(NEXT) | instid1(VALU_DEP_2)
	v_lshrrev_b64 v[0:1], 20, v[0:1]
	v_cmp_gt_i32_e32 vcc_lo, 16, v2
	v_cmp_ne_u32_e64 s2, 0, v2
                                        ; implicit-def: $vgpr8
	s_delay_alu instid0(VALU_DEP_3) | instskip(NEXT) | instid1(VALU_DEP_1)
	v_dual_cndmask_b32 v1, 0, v1 :: v_dual_cndmask_b32 v0, 7, v0
	v_cmp_ne_u64_e32 vcc_lo, 0, v[0:1]
	s_delay_alu instid0(VALU_DEP_3) | instskip(NEXT) | instid1(SALU_CYCLE_1)
	s_or_b32 s2, s2, vcc_lo
	s_and_saveexec_b32 s9, s2
	s_delay_alu instid0(SALU_CYCLE_1)
	s_xor_b32 s2, exec_lo, s9
; %bb.462:
	v_min_i32_e32 v1, 15, v2
	s_delay_alu instid0(VALU_DEP_1) | instskip(NEXT) | instid1(VALU_DEP_1)
	v_lshl_or_b32 v1, v1, 3, v20
                                        ; implicit-def: $vgpr20
	v_and_or_b32 v8, v0, 7, v1
; %bb.463:
	s_and_not1_saveexec_b32 s2, s2
; %bb.464:
	v_mov_b32_e32 v8, v20
; %bb.465:
	s_or_b32 exec_lo, exec_lo, s2
.LBB12_466:
	s_delay_alu instid0(SALU_CYCLE_1)
	s_or_b32 exec_lo, exec_lo, s8
.LBB12_467:
	s_and_not1_saveexec_b32 s2, s5
	s_delay_alu instid0(SALU_CYCLE_1)
	s_or_b32 exec_lo, exec_lo, s2
                                        ; implicit-def: $vgpr3
                                        ; implicit-def: $vgpr0_vgpr1
.LBB12_468:
	s_and_not1_saveexec_b32 s2, s4
; %bb.469:
	v_cmp_eq_u64_e32 vcc_lo, 0, v[0:1]
	v_or_b32_e32 v2, 0x7f, v3
	s_delay_alu instid0(VALU_DEP_1)
	v_cndmask_b32_e32 v8, v2, v8, vcc_lo
; %bb.470:
	s_or_b32 exec_lo, exec_lo, s2
	v_dual_mul_f32 v0, s3, v9 :: v_dual_mov_b32 v1, 0
	s_mov_b32 s2, 0xc3e00000
	s_delay_alu instid0(VALU_DEP_1) | instid1(SALU_CYCLE_1)
	v_maxmin_f32 v2, v0, s2, 0x43e00000
	s_mov_b32 s2, exec_lo
	s_delay_alu instid0(VALU_DEP_2) | instskip(NEXT) | instid1(VALU_DEP_2)
	v_mov_b32_e32 v22, v1
	v_lshrrev_b32_e32 v3, 24, v2
	v_and_b32_e32 v21, 0x7f800000, v2
	v_and_b32_e32 v0, 0x7fffff, v2
	s_delay_alu instid0(VALU_DEP_3) | instskip(NEXT) | instid1(VALU_DEP_1)
	v_and_b32_e32 v20, 0x80, v3
	v_or_b32_e32 v9, 0x7e, v20
	s_delay_alu instid0(VALU_DEP_4)
	v_cmpx_ne_u64_e32 0x7f800000, v[21:22]
	s_xor_b32 s4, exec_lo, s2
	s_cbranch_execz .LBB12_486
; %bb.471:
	v_dual_mov_b32 v22, v1 :: v_dual_and_b32 v21, 0x7fffffff, v2
	s_mov_b32 s2, exec_lo
	s_delay_alu instid0(VALU_DEP_1)
	v_cmpx_gt_u64_e32 0x43e00001, v[21:22]
	s_xor_b32 s5, exec_lo, s2
	s_cbranch_execz .LBB12_485
; %bb.472:
	v_mov_b32_e32 v9, 0
	s_mov_b32 s8, exec_lo
	v_cmpx_ne_u32_e32 0, v2
	s_cbranch_execz .LBB12_484
; %bb.473:
	v_bfe_u32 v9, v2, 23, 8
	v_or_b32_e32 v22, 0x800000, v0
	s_delay_alu instid0(VALU_DEP_2) | instskip(SKIP_1) | instid1(VALU_DEP_2)
	v_sub_nc_u32_e32 v2, 0x79, v9
	v_cmp_gt_u32_e32 vcc_lo, 0x7a, v9
	v_cndmask_b32_e32 v2, 0, v2, vcc_lo
	v_cmp_eq_u32_e32 vcc_lo, 0, v9
	s_delay_alu instid0(VALU_DEP_2) | instskip(SKIP_1) | instid1(VALU_DEP_2)
	v_cndmask_b32_e64 v21, v2, 0x78, vcc_lo
	v_cndmask_b32_e32 v0, v22, v0, vcc_lo
	v_add_nc_u32_e32 v2, 20, v21
	v_add_nc_u32_e32 v22, 19, v21
	s_delay_alu instid0(VALU_DEP_2) | instskip(NEXT) | instid1(VALU_DEP_1)
	v_lshlrev_b64 v[2:3], v2, -1
	v_not_b32_e32 v24, v2
	s_delay_alu instid0(VALU_DEP_2) | instskip(NEXT) | instid1(VALU_DEP_4)
	v_not_b32_e32 v23, v3
	v_lshlrev_b64 v[2:3], v22, 1
	s_delay_alu instid0(VALU_DEP_3) | instskip(SKIP_1) | instid1(VALU_DEP_4)
	v_and_b32_e32 v22, v0, v24
	v_lshrrev_b64 v[0:1], v21, v[0:1]
	v_and_b32_e32 v23, 0, v23
	s_delay_alu instid0(VALU_DEP_1) | instskip(NEXT) | instid1(VALU_DEP_3)
	v_cmp_eq_u64_e64 s2, v[22:23], v[2:3]
	v_dual_mov_b32 v3, v1 :: v_dual_mov_b32 v2, v0
	s_delay_alu instid0(VALU_DEP_2)
	s_and_saveexec_b32 s9, s2
; %bb.474:
	v_bfe_u32 v2, v0, 20, 1
	s_delay_alu instid0(VALU_DEP_1) | instskip(NEXT) | instid1(VALU_DEP_1)
	v_add_co_u32 v2, s2, v0, v2
	v_add_co_u32 v2, s2, v2, -1
; %bb.475:
	s_or_b32 exec_lo, exec_lo, s9
	v_add_nc_u32_e32 v3, 0xffffff81, v9
	v_lshrrev_b32_e32 v9, 23, v0
	s_delay_alu instid0(VALU_DEP_3) | instskip(SKIP_1) | instid1(VALU_DEP_3)
	v_and_b32_e32 v2, 0xfffff, v2
	s_mov_b32 s2, exec_lo
	v_cndmask_b32_e64 v3, v3, 0xffffff82, vcc_lo
	s_delay_alu instid0(VALU_DEP_2) | instskip(SKIP_1) | instid1(VALU_DEP_3)
	v_add_co_u32 v0, vcc_lo, v2, v0
	v_add_co_ci_u32_e32 v1, vcc_lo, 0, v1, vcc_lo
	v_add3_u32 v3, v21, v3, v9
                                        ; implicit-def: $vgpr2
	s_delay_alu instid0(VALU_DEP_1) | instskip(NEXT) | instid1(VALU_DEP_1)
	v_add_nc_u32_e32 v9, 6, v3
	v_cmpx_ne_u32_e32 0, v9
	s_xor_b32 s2, exec_lo, s2
; %bb.476:
	v_cmp_lt_u64_e32 vcc_lo, 0xffffff, v[0:1]
	v_add_nc_u32_e32 v2, 7, v3
	v_cndmask_b32_e64 v3, 0, 1, vcc_lo
	s_delay_alu instid0(VALU_DEP_2) | instskip(NEXT) | instid1(VALU_DEP_2)
	v_cndmask_b32_e32 v2, v9, v2, vcc_lo
	v_lshrrev_b64 v[0:1], v3, v[0:1]
; %bb.477:
	s_and_not1_saveexec_b32 s2, s2
; %bb.478:
	s_delay_alu instid0(VALU_DEP_1)
	v_bfe_u32 v2, v0, 23, 1
; %bb.479:
	s_or_b32 exec_lo, exec_lo, s2
	s_delay_alu instid0(VALU_DEP_2) | instskip(NEXT) | instid1(VALU_DEP_2)
	v_lshrrev_b64 v[0:1], 20, v[0:1]
	v_cmp_gt_i32_e32 vcc_lo, 16, v2
	v_cmp_ne_u32_e64 s2, 0, v2
                                        ; implicit-def: $vgpr9
	s_delay_alu instid0(VALU_DEP_3) | instskip(NEXT) | instid1(VALU_DEP_1)
	v_dual_cndmask_b32 v1, 0, v1 :: v_dual_cndmask_b32 v0, 7, v0
	v_cmp_ne_u64_e32 vcc_lo, 0, v[0:1]
	s_delay_alu instid0(VALU_DEP_3) | instskip(NEXT) | instid1(SALU_CYCLE_1)
	s_or_b32 s2, s2, vcc_lo
	s_and_saveexec_b32 s9, s2
	s_delay_alu instid0(SALU_CYCLE_1)
	s_xor_b32 s2, exec_lo, s9
; %bb.480:
	v_min_i32_e32 v1, 15, v2
	s_delay_alu instid0(VALU_DEP_1) | instskip(NEXT) | instid1(VALU_DEP_1)
	v_lshl_or_b32 v1, v1, 3, v20
                                        ; implicit-def: $vgpr20
	v_and_or_b32 v9, v0, 7, v1
; %bb.481:
	s_and_not1_saveexec_b32 s2, s2
; %bb.482:
	v_mov_b32_e32 v9, v20
; %bb.483:
	s_or_b32 exec_lo, exec_lo, s2
.LBB12_484:
	s_delay_alu instid0(SALU_CYCLE_1)
	s_or_b32 exec_lo, exec_lo, s8
.LBB12_485:
	s_and_not1_saveexec_b32 s2, s5
	s_delay_alu instid0(SALU_CYCLE_1)
	s_or_b32 exec_lo, exec_lo, s2
                                        ; implicit-def: $vgpr3
                                        ; implicit-def: $vgpr0_vgpr1
.LBB12_486:
	s_and_not1_saveexec_b32 s2, s4
; %bb.487:
	v_cmp_eq_u64_e32 vcc_lo, 0, v[0:1]
	v_or_b32_e32 v2, 0x7f, v3
	s_delay_alu instid0(VALU_DEP_1)
	v_cndmask_b32_e32 v9, v2, v9, vcc_lo
; %bb.488:
	s_or_b32 exec_lo, exec_lo, s2
	v_dual_mul_f32 v0, s3, v10 :: v_dual_mov_b32 v1, 0
	s_mov_b32 s2, 0xc3e00000
	s_delay_alu instid0(VALU_DEP_1) | instid1(SALU_CYCLE_1)
	v_maxmin_f32 v2, v0, s2, 0x43e00000
	s_mov_b32 s2, exec_lo
	s_delay_alu instid0(VALU_DEP_2) | instskip(NEXT) | instid1(VALU_DEP_2)
	v_mov_b32_e32 v22, v1
	v_lshrrev_b32_e32 v3, 24, v2
	v_and_b32_e32 v21, 0x7f800000, v2
	v_and_b32_e32 v0, 0x7fffff, v2
	s_delay_alu instid0(VALU_DEP_3) | instskip(NEXT) | instid1(VALU_DEP_1)
	v_and_b32_e32 v20, 0x80, v3
	v_or_b32_e32 v10, 0x7e, v20
	s_delay_alu instid0(VALU_DEP_4)
	v_cmpx_ne_u64_e32 0x7f800000, v[21:22]
	s_xor_b32 s4, exec_lo, s2
	s_cbranch_execz .LBB12_504
; %bb.489:
	v_dual_mov_b32 v22, v1 :: v_dual_and_b32 v21, 0x7fffffff, v2
	s_mov_b32 s2, exec_lo
	s_delay_alu instid0(VALU_DEP_1)
	v_cmpx_gt_u64_e32 0x43e00001, v[21:22]
	s_xor_b32 s5, exec_lo, s2
	s_cbranch_execz .LBB12_503
; %bb.490:
	v_mov_b32_e32 v10, 0
	s_mov_b32 s8, exec_lo
	v_cmpx_ne_u32_e32 0, v2
	s_cbranch_execz .LBB12_502
; %bb.491:
	v_bfe_u32 v10, v2, 23, 8
	v_or_b32_e32 v22, 0x800000, v0
	s_delay_alu instid0(VALU_DEP_2) | instskip(SKIP_1) | instid1(VALU_DEP_2)
	v_sub_nc_u32_e32 v2, 0x79, v10
	v_cmp_gt_u32_e32 vcc_lo, 0x7a, v10
	v_cndmask_b32_e32 v2, 0, v2, vcc_lo
	v_cmp_eq_u32_e32 vcc_lo, 0, v10
	s_delay_alu instid0(VALU_DEP_2) | instskip(SKIP_1) | instid1(VALU_DEP_2)
	v_cndmask_b32_e64 v21, v2, 0x78, vcc_lo
	v_cndmask_b32_e32 v0, v22, v0, vcc_lo
	v_add_nc_u32_e32 v2, 20, v21
	v_add_nc_u32_e32 v22, 19, v21
	s_delay_alu instid0(VALU_DEP_2) | instskip(NEXT) | instid1(VALU_DEP_1)
	v_lshlrev_b64 v[2:3], v2, -1
	v_not_b32_e32 v24, v2
	s_delay_alu instid0(VALU_DEP_2) | instskip(NEXT) | instid1(VALU_DEP_4)
	v_not_b32_e32 v23, v3
	v_lshlrev_b64 v[2:3], v22, 1
	s_delay_alu instid0(VALU_DEP_3) | instskip(SKIP_1) | instid1(VALU_DEP_4)
	v_and_b32_e32 v22, v0, v24
	v_lshrrev_b64 v[0:1], v21, v[0:1]
	v_and_b32_e32 v23, 0, v23
	s_delay_alu instid0(VALU_DEP_1) | instskip(NEXT) | instid1(VALU_DEP_3)
	v_cmp_eq_u64_e64 s2, v[22:23], v[2:3]
	v_dual_mov_b32 v3, v1 :: v_dual_mov_b32 v2, v0
	s_delay_alu instid0(VALU_DEP_2)
	s_and_saveexec_b32 s9, s2
; %bb.492:
	v_bfe_u32 v2, v0, 20, 1
	s_delay_alu instid0(VALU_DEP_1) | instskip(NEXT) | instid1(VALU_DEP_1)
	v_add_co_u32 v2, s2, v0, v2
	v_add_co_u32 v2, s2, v2, -1
; %bb.493:
	s_or_b32 exec_lo, exec_lo, s9
	v_add_nc_u32_e32 v3, 0xffffff81, v10
	v_lshrrev_b32_e32 v10, 23, v0
	s_delay_alu instid0(VALU_DEP_3) | instskip(SKIP_1) | instid1(VALU_DEP_3)
	v_and_b32_e32 v2, 0xfffff, v2
	s_mov_b32 s2, exec_lo
	v_cndmask_b32_e64 v3, v3, 0xffffff82, vcc_lo
	s_delay_alu instid0(VALU_DEP_2) | instskip(SKIP_1) | instid1(VALU_DEP_3)
	v_add_co_u32 v0, vcc_lo, v2, v0
	v_add_co_ci_u32_e32 v1, vcc_lo, 0, v1, vcc_lo
	v_add3_u32 v3, v21, v3, v10
                                        ; implicit-def: $vgpr2
	s_delay_alu instid0(VALU_DEP_1) | instskip(NEXT) | instid1(VALU_DEP_1)
	v_add_nc_u32_e32 v10, 6, v3
	v_cmpx_ne_u32_e32 0, v10
	s_xor_b32 s2, exec_lo, s2
; %bb.494:
	v_cmp_lt_u64_e32 vcc_lo, 0xffffff, v[0:1]
	v_add_nc_u32_e32 v2, 7, v3
	v_cndmask_b32_e64 v3, 0, 1, vcc_lo
	s_delay_alu instid0(VALU_DEP_2) | instskip(NEXT) | instid1(VALU_DEP_2)
	v_cndmask_b32_e32 v2, v10, v2, vcc_lo
	v_lshrrev_b64 v[0:1], v3, v[0:1]
; %bb.495:
	s_and_not1_saveexec_b32 s2, s2
; %bb.496:
	s_delay_alu instid0(VALU_DEP_1)
	v_bfe_u32 v2, v0, 23, 1
; %bb.497:
	s_or_b32 exec_lo, exec_lo, s2
	s_delay_alu instid0(VALU_DEP_2) | instskip(NEXT) | instid1(VALU_DEP_2)
	v_lshrrev_b64 v[0:1], 20, v[0:1]
	v_cmp_gt_i32_e32 vcc_lo, 16, v2
	v_cmp_ne_u32_e64 s2, 0, v2
                                        ; implicit-def: $vgpr10
	s_delay_alu instid0(VALU_DEP_3) | instskip(NEXT) | instid1(VALU_DEP_1)
	v_dual_cndmask_b32 v1, 0, v1 :: v_dual_cndmask_b32 v0, 7, v0
	v_cmp_ne_u64_e32 vcc_lo, 0, v[0:1]
	s_delay_alu instid0(VALU_DEP_3) | instskip(NEXT) | instid1(SALU_CYCLE_1)
	s_or_b32 s2, s2, vcc_lo
	s_and_saveexec_b32 s9, s2
	s_delay_alu instid0(SALU_CYCLE_1)
	s_xor_b32 s2, exec_lo, s9
; %bb.498:
	v_min_i32_e32 v1, 15, v2
	s_delay_alu instid0(VALU_DEP_1) | instskip(NEXT) | instid1(VALU_DEP_1)
	v_lshl_or_b32 v1, v1, 3, v20
                                        ; implicit-def: $vgpr20
	v_and_or_b32 v10, v0, 7, v1
; %bb.499:
	s_and_not1_saveexec_b32 s2, s2
; %bb.500:
	v_mov_b32_e32 v10, v20
; %bb.501:
	s_or_b32 exec_lo, exec_lo, s2
.LBB12_502:
	s_delay_alu instid0(SALU_CYCLE_1)
	s_or_b32 exec_lo, exec_lo, s8
.LBB12_503:
	s_and_not1_saveexec_b32 s2, s5
	s_delay_alu instid0(SALU_CYCLE_1)
	s_or_b32 exec_lo, exec_lo, s2
                                        ; implicit-def: $vgpr3
                                        ; implicit-def: $vgpr0_vgpr1
.LBB12_504:
	s_and_not1_saveexec_b32 s2, s4
; %bb.505:
	v_cmp_eq_u64_e32 vcc_lo, 0, v[0:1]
	v_or_b32_e32 v2, 0x7f, v3
	s_delay_alu instid0(VALU_DEP_1)
	v_cndmask_b32_e32 v10, v2, v10, vcc_lo
; %bb.506:
	s_or_b32 exec_lo, exec_lo, s2
	v_dual_mul_f32 v0, s3, v11 :: v_dual_mov_b32 v1, 0
	s_mov_b32 s2, 0xc3e00000
	s_delay_alu instid0(VALU_DEP_1) | instid1(SALU_CYCLE_1)
	v_maxmin_f32 v2, v0, s2, 0x43e00000
	s_mov_b32 s2, exec_lo
	s_delay_alu instid0(VALU_DEP_2) | instskip(NEXT) | instid1(VALU_DEP_2)
	v_mov_b32_e32 v22, v1
	v_lshrrev_b32_e32 v3, 24, v2
	v_and_b32_e32 v21, 0x7f800000, v2
	v_and_b32_e32 v0, 0x7fffff, v2
	s_delay_alu instid0(VALU_DEP_3) | instskip(NEXT) | instid1(VALU_DEP_1)
	v_and_b32_e32 v20, 0x80, v3
	v_or_b32_e32 v11, 0x7e, v20
	s_delay_alu instid0(VALU_DEP_4)
	v_cmpx_ne_u64_e32 0x7f800000, v[21:22]
	s_xor_b32 s4, exec_lo, s2
	s_cbranch_execz .LBB12_522
; %bb.507:
	v_dual_mov_b32 v22, v1 :: v_dual_and_b32 v21, 0x7fffffff, v2
	s_mov_b32 s2, exec_lo
	s_delay_alu instid0(VALU_DEP_1)
	v_cmpx_gt_u64_e32 0x43e00001, v[21:22]
	s_xor_b32 s5, exec_lo, s2
	s_cbranch_execz .LBB12_521
; %bb.508:
	v_mov_b32_e32 v11, 0
	s_mov_b32 s8, exec_lo
	v_cmpx_ne_u32_e32 0, v2
	s_cbranch_execz .LBB12_520
; %bb.509:
	v_bfe_u32 v11, v2, 23, 8
	v_or_b32_e32 v22, 0x800000, v0
	s_delay_alu instid0(VALU_DEP_2) | instskip(SKIP_1) | instid1(VALU_DEP_2)
	v_sub_nc_u32_e32 v2, 0x79, v11
	v_cmp_gt_u32_e32 vcc_lo, 0x7a, v11
	v_cndmask_b32_e32 v2, 0, v2, vcc_lo
	v_cmp_eq_u32_e32 vcc_lo, 0, v11
	s_delay_alu instid0(VALU_DEP_2) | instskip(SKIP_1) | instid1(VALU_DEP_2)
	v_cndmask_b32_e64 v21, v2, 0x78, vcc_lo
	v_cndmask_b32_e32 v0, v22, v0, vcc_lo
	v_add_nc_u32_e32 v2, 20, v21
	v_add_nc_u32_e32 v22, 19, v21
	s_delay_alu instid0(VALU_DEP_2) | instskip(NEXT) | instid1(VALU_DEP_1)
	v_lshlrev_b64 v[2:3], v2, -1
	v_not_b32_e32 v24, v2
	s_delay_alu instid0(VALU_DEP_2) | instskip(NEXT) | instid1(VALU_DEP_4)
	v_not_b32_e32 v23, v3
	v_lshlrev_b64 v[2:3], v22, 1
	s_delay_alu instid0(VALU_DEP_3) | instskip(SKIP_1) | instid1(VALU_DEP_4)
	v_and_b32_e32 v22, v0, v24
	v_lshrrev_b64 v[0:1], v21, v[0:1]
	v_and_b32_e32 v23, 0, v23
	s_delay_alu instid0(VALU_DEP_1) | instskip(NEXT) | instid1(VALU_DEP_3)
	v_cmp_eq_u64_e64 s2, v[22:23], v[2:3]
	v_dual_mov_b32 v3, v1 :: v_dual_mov_b32 v2, v0
	s_delay_alu instid0(VALU_DEP_2)
	s_and_saveexec_b32 s9, s2
; %bb.510:
	v_bfe_u32 v2, v0, 20, 1
	s_delay_alu instid0(VALU_DEP_1) | instskip(NEXT) | instid1(VALU_DEP_1)
	v_add_co_u32 v2, s2, v0, v2
	v_add_co_u32 v2, s2, v2, -1
; %bb.511:
	s_or_b32 exec_lo, exec_lo, s9
	v_add_nc_u32_e32 v3, 0xffffff81, v11
	v_lshrrev_b32_e32 v11, 23, v0
	s_delay_alu instid0(VALU_DEP_3) | instskip(SKIP_1) | instid1(VALU_DEP_3)
	v_and_b32_e32 v2, 0xfffff, v2
	s_mov_b32 s2, exec_lo
	v_cndmask_b32_e64 v3, v3, 0xffffff82, vcc_lo
	s_delay_alu instid0(VALU_DEP_2) | instskip(SKIP_1) | instid1(VALU_DEP_3)
	v_add_co_u32 v0, vcc_lo, v2, v0
	v_add_co_ci_u32_e32 v1, vcc_lo, 0, v1, vcc_lo
	v_add3_u32 v3, v21, v3, v11
                                        ; implicit-def: $vgpr2
	s_delay_alu instid0(VALU_DEP_1) | instskip(NEXT) | instid1(VALU_DEP_1)
	v_add_nc_u32_e32 v11, 6, v3
	v_cmpx_ne_u32_e32 0, v11
	s_xor_b32 s2, exec_lo, s2
; %bb.512:
	v_cmp_lt_u64_e32 vcc_lo, 0xffffff, v[0:1]
	v_add_nc_u32_e32 v2, 7, v3
	v_cndmask_b32_e64 v3, 0, 1, vcc_lo
	s_delay_alu instid0(VALU_DEP_2) | instskip(NEXT) | instid1(VALU_DEP_2)
	v_cndmask_b32_e32 v2, v11, v2, vcc_lo
	v_lshrrev_b64 v[0:1], v3, v[0:1]
; %bb.513:
	s_and_not1_saveexec_b32 s2, s2
; %bb.514:
	s_delay_alu instid0(VALU_DEP_1)
	v_bfe_u32 v2, v0, 23, 1
; %bb.515:
	s_or_b32 exec_lo, exec_lo, s2
	s_delay_alu instid0(VALU_DEP_2) | instskip(NEXT) | instid1(VALU_DEP_2)
	v_lshrrev_b64 v[0:1], 20, v[0:1]
	v_cmp_gt_i32_e32 vcc_lo, 16, v2
	v_cmp_ne_u32_e64 s2, 0, v2
                                        ; implicit-def: $vgpr11
	s_delay_alu instid0(VALU_DEP_3) | instskip(NEXT) | instid1(VALU_DEP_1)
	v_dual_cndmask_b32 v1, 0, v1 :: v_dual_cndmask_b32 v0, 7, v0
	v_cmp_ne_u64_e32 vcc_lo, 0, v[0:1]
	s_delay_alu instid0(VALU_DEP_3) | instskip(NEXT) | instid1(SALU_CYCLE_1)
	s_or_b32 s2, s2, vcc_lo
	s_and_saveexec_b32 s9, s2
	s_delay_alu instid0(SALU_CYCLE_1)
	s_xor_b32 s2, exec_lo, s9
; %bb.516:
	v_min_i32_e32 v1, 15, v2
	s_delay_alu instid0(VALU_DEP_1) | instskip(NEXT) | instid1(VALU_DEP_1)
	v_lshl_or_b32 v1, v1, 3, v20
                                        ; implicit-def: $vgpr20
	v_and_or_b32 v11, v0, 7, v1
; %bb.517:
	s_and_not1_saveexec_b32 s2, s2
; %bb.518:
	v_mov_b32_e32 v11, v20
; %bb.519:
	s_or_b32 exec_lo, exec_lo, s2
.LBB12_520:
	s_delay_alu instid0(SALU_CYCLE_1)
	s_or_b32 exec_lo, exec_lo, s8
.LBB12_521:
	s_and_not1_saveexec_b32 s2, s5
	s_delay_alu instid0(SALU_CYCLE_1)
	s_or_b32 exec_lo, exec_lo, s2
                                        ; implicit-def: $vgpr3
                                        ; implicit-def: $vgpr0_vgpr1
.LBB12_522:
	s_and_not1_saveexec_b32 s2, s4
; %bb.523:
	v_cmp_eq_u64_e32 vcc_lo, 0, v[0:1]
	v_or_b32_e32 v2, 0x7f, v3
	s_delay_alu instid0(VALU_DEP_1)
	v_cndmask_b32_e32 v11, v2, v11, vcc_lo
; %bb.524:
	s_or_b32 exec_lo, exec_lo, s2
	v_dual_mul_f32 v0, s3, v12 :: v_dual_mov_b32 v1, 0
	s_mov_b32 s2, 0xc3e00000
	s_delay_alu instid0(VALU_DEP_1) | instid1(SALU_CYCLE_1)
	v_maxmin_f32 v2, v0, s2, 0x43e00000
	s_mov_b32 s2, exec_lo
	s_delay_alu instid0(VALU_DEP_2) | instskip(NEXT) | instid1(VALU_DEP_2)
	v_mov_b32_e32 v22, v1
	v_lshrrev_b32_e32 v3, 24, v2
	v_and_b32_e32 v21, 0x7f800000, v2
	v_and_b32_e32 v0, 0x7fffff, v2
	s_delay_alu instid0(VALU_DEP_3) | instskip(NEXT) | instid1(VALU_DEP_1)
	v_and_b32_e32 v20, 0x80, v3
	v_or_b32_e32 v12, 0x7e, v20
	s_delay_alu instid0(VALU_DEP_4)
	v_cmpx_ne_u64_e32 0x7f800000, v[21:22]
	s_xor_b32 s4, exec_lo, s2
	s_cbranch_execz .LBB12_540
; %bb.525:
	v_dual_mov_b32 v22, v1 :: v_dual_and_b32 v21, 0x7fffffff, v2
	s_mov_b32 s2, exec_lo
	s_delay_alu instid0(VALU_DEP_1)
	v_cmpx_gt_u64_e32 0x43e00001, v[21:22]
	s_xor_b32 s5, exec_lo, s2
	s_cbranch_execz .LBB12_539
; %bb.526:
	v_mov_b32_e32 v12, 0
	s_mov_b32 s8, exec_lo
	v_cmpx_ne_u32_e32 0, v2
	s_cbranch_execz .LBB12_538
; %bb.527:
	v_bfe_u32 v12, v2, 23, 8
	v_or_b32_e32 v22, 0x800000, v0
	s_delay_alu instid0(VALU_DEP_2) | instskip(SKIP_1) | instid1(VALU_DEP_2)
	v_sub_nc_u32_e32 v2, 0x79, v12
	v_cmp_gt_u32_e32 vcc_lo, 0x7a, v12
	v_cndmask_b32_e32 v2, 0, v2, vcc_lo
	v_cmp_eq_u32_e32 vcc_lo, 0, v12
	s_delay_alu instid0(VALU_DEP_2) | instskip(SKIP_1) | instid1(VALU_DEP_2)
	v_cndmask_b32_e64 v21, v2, 0x78, vcc_lo
	v_cndmask_b32_e32 v0, v22, v0, vcc_lo
	v_add_nc_u32_e32 v2, 20, v21
	v_add_nc_u32_e32 v22, 19, v21
	s_delay_alu instid0(VALU_DEP_2) | instskip(NEXT) | instid1(VALU_DEP_1)
	v_lshlrev_b64 v[2:3], v2, -1
	v_not_b32_e32 v24, v2
	s_delay_alu instid0(VALU_DEP_2) | instskip(NEXT) | instid1(VALU_DEP_4)
	v_not_b32_e32 v23, v3
	v_lshlrev_b64 v[2:3], v22, 1
	s_delay_alu instid0(VALU_DEP_3) | instskip(SKIP_1) | instid1(VALU_DEP_4)
	v_and_b32_e32 v22, v0, v24
	v_lshrrev_b64 v[0:1], v21, v[0:1]
	v_and_b32_e32 v23, 0, v23
	s_delay_alu instid0(VALU_DEP_1) | instskip(NEXT) | instid1(VALU_DEP_3)
	v_cmp_eq_u64_e64 s2, v[22:23], v[2:3]
	v_dual_mov_b32 v3, v1 :: v_dual_mov_b32 v2, v0
	s_delay_alu instid0(VALU_DEP_2)
	s_and_saveexec_b32 s9, s2
; %bb.528:
	v_bfe_u32 v2, v0, 20, 1
	s_delay_alu instid0(VALU_DEP_1) | instskip(NEXT) | instid1(VALU_DEP_1)
	v_add_co_u32 v2, s2, v0, v2
	v_add_co_u32 v2, s2, v2, -1
; %bb.529:
	s_or_b32 exec_lo, exec_lo, s9
	v_add_nc_u32_e32 v3, 0xffffff81, v12
	v_lshrrev_b32_e32 v12, 23, v0
	s_delay_alu instid0(VALU_DEP_3) | instskip(SKIP_1) | instid1(VALU_DEP_3)
	v_and_b32_e32 v2, 0xfffff, v2
	s_mov_b32 s2, exec_lo
	v_cndmask_b32_e64 v3, v3, 0xffffff82, vcc_lo
	s_delay_alu instid0(VALU_DEP_2) | instskip(SKIP_1) | instid1(VALU_DEP_3)
	v_add_co_u32 v0, vcc_lo, v2, v0
	v_add_co_ci_u32_e32 v1, vcc_lo, 0, v1, vcc_lo
	v_add3_u32 v3, v21, v3, v12
                                        ; implicit-def: $vgpr2
	s_delay_alu instid0(VALU_DEP_1) | instskip(NEXT) | instid1(VALU_DEP_1)
	v_add_nc_u32_e32 v12, 6, v3
	v_cmpx_ne_u32_e32 0, v12
	s_xor_b32 s2, exec_lo, s2
; %bb.530:
	v_cmp_lt_u64_e32 vcc_lo, 0xffffff, v[0:1]
	v_add_nc_u32_e32 v2, 7, v3
	v_cndmask_b32_e64 v3, 0, 1, vcc_lo
	s_delay_alu instid0(VALU_DEP_2) | instskip(NEXT) | instid1(VALU_DEP_2)
	v_cndmask_b32_e32 v2, v12, v2, vcc_lo
	v_lshrrev_b64 v[0:1], v3, v[0:1]
; %bb.531:
	s_and_not1_saveexec_b32 s2, s2
; %bb.532:
	s_delay_alu instid0(VALU_DEP_1)
	v_bfe_u32 v2, v0, 23, 1
; %bb.533:
	s_or_b32 exec_lo, exec_lo, s2
	s_delay_alu instid0(VALU_DEP_2) | instskip(NEXT) | instid1(VALU_DEP_2)
	v_lshrrev_b64 v[0:1], 20, v[0:1]
	v_cmp_gt_i32_e32 vcc_lo, 16, v2
	v_cmp_ne_u32_e64 s2, 0, v2
                                        ; implicit-def: $vgpr12
	s_delay_alu instid0(VALU_DEP_3) | instskip(NEXT) | instid1(VALU_DEP_1)
	v_dual_cndmask_b32 v1, 0, v1 :: v_dual_cndmask_b32 v0, 7, v0
	v_cmp_ne_u64_e32 vcc_lo, 0, v[0:1]
	s_delay_alu instid0(VALU_DEP_3) | instskip(NEXT) | instid1(SALU_CYCLE_1)
	s_or_b32 s2, s2, vcc_lo
	s_and_saveexec_b32 s9, s2
	s_delay_alu instid0(SALU_CYCLE_1)
	s_xor_b32 s2, exec_lo, s9
; %bb.534:
	v_min_i32_e32 v1, 15, v2
	s_delay_alu instid0(VALU_DEP_1) | instskip(NEXT) | instid1(VALU_DEP_1)
	v_lshl_or_b32 v1, v1, 3, v20
                                        ; implicit-def: $vgpr20
	v_and_or_b32 v12, v0, 7, v1
; %bb.535:
	s_and_not1_saveexec_b32 s2, s2
; %bb.536:
	v_mov_b32_e32 v12, v20
; %bb.537:
	s_or_b32 exec_lo, exec_lo, s2
.LBB12_538:
	s_delay_alu instid0(SALU_CYCLE_1)
	s_or_b32 exec_lo, exec_lo, s8
.LBB12_539:
	s_and_not1_saveexec_b32 s2, s5
	s_delay_alu instid0(SALU_CYCLE_1)
	s_or_b32 exec_lo, exec_lo, s2
                                        ; implicit-def: $vgpr3
                                        ; implicit-def: $vgpr0_vgpr1
.LBB12_540:
	s_and_not1_saveexec_b32 s2, s4
; %bb.541:
	v_cmp_eq_u64_e32 vcc_lo, 0, v[0:1]
	v_or_b32_e32 v2, 0x7f, v3
	s_delay_alu instid0(VALU_DEP_1)
	v_cndmask_b32_e32 v12, v2, v12, vcc_lo
; %bb.542:
	s_or_b32 exec_lo, exec_lo, s2
	v_dual_mul_f32 v0, s3, v13 :: v_dual_mov_b32 v1, 0
	s_mov_b32 s2, 0xc3e00000
	s_delay_alu instid0(VALU_DEP_1) | instid1(SALU_CYCLE_1)
	v_maxmin_f32 v2, v0, s2, 0x43e00000
	s_mov_b32 s2, exec_lo
	s_delay_alu instid0(VALU_DEP_2) | instskip(NEXT) | instid1(VALU_DEP_2)
	v_mov_b32_e32 v22, v1
	v_lshrrev_b32_e32 v3, 24, v2
	v_and_b32_e32 v21, 0x7f800000, v2
	v_and_b32_e32 v0, 0x7fffff, v2
	s_delay_alu instid0(VALU_DEP_3) | instskip(NEXT) | instid1(VALU_DEP_1)
	v_and_b32_e32 v20, 0x80, v3
	v_or_b32_e32 v13, 0x7e, v20
	s_delay_alu instid0(VALU_DEP_4)
	v_cmpx_ne_u64_e32 0x7f800000, v[21:22]
	s_xor_b32 s4, exec_lo, s2
	s_cbranch_execz .LBB12_558
; %bb.543:
	v_dual_mov_b32 v22, v1 :: v_dual_and_b32 v21, 0x7fffffff, v2
	s_mov_b32 s2, exec_lo
	s_delay_alu instid0(VALU_DEP_1)
	v_cmpx_gt_u64_e32 0x43e00001, v[21:22]
	s_xor_b32 s5, exec_lo, s2
	s_cbranch_execz .LBB12_557
; %bb.544:
	v_mov_b32_e32 v13, 0
	s_mov_b32 s8, exec_lo
	v_cmpx_ne_u32_e32 0, v2
	s_cbranch_execz .LBB12_556
; %bb.545:
	v_bfe_u32 v13, v2, 23, 8
	v_or_b32_e32 v22, 0x800000, v0
	s_delay_alu instid0(VALU_DEP_2) | instskip(SKIP_1) | instid1(VALU_DEP_2)
	v_sub_nc_u32_e32 v2, 0x79, v13
	v_cmp_gt_u32_e32 vcc_lo, 0x7a, v13
	v_cndmask_b32_e32 v2, 0, v2, vcc_lo
	v_cmp_eq_u32_e32 vcc_lo, 0, v13
	s_delay_alu instid0(VALU_DEP_2) | instskip(SKIP_1) | instid1(VALU_DEP_2)
	v_cndmask_b32_e64 v21, v2, 0x78, vcc_lo
	v_cndmask_b32_e32 v0, v22, v0, vcc_lo
	v_add_nc_u32_e32 v2, 20, v21
	v_add_nc_u32_e32 v22, 19, v21
	s_delay_alu instid0(VALU_DEP_2) | instskip(NEXT) | instid1(VALU_DEP_1)
	v_lshlrev_b64 v[2:3], v2, -1
	v_not_b32_e32 v24, v2
	s_delay_alu instid0(VALU_DEP_2) | instskip(NEXT) | instid1(VALU_DEP_4)
	v_not_b32_e32 v23, v3
	v_lshlrev_b64 v[2:3], v22, 1
	s_delay_alu instid0(VALU_DEP_3) | instskip(SKIP_1) | instid1(VALU_DEP_4)
	v_and_b32_e32 v22, v0, v24
	v_lshrrev_b64 v[0:1], v21, v[0:1]
	v_and_b32_e32 v23, 0, v23
	s_delay_alu instid0(VALU_DEP_1) | instskip(NEXT) | instid1(VALU_DEP_3)
	v_cmp_eq_u64_e64 s2, v[22:23], v[2:3]
	v_dual_mov_b32 v3, v1 :: v_dual_mov_b32 v2, v0
	s_delay_alu instid0(VALU_DEP_2)
	s_and_saveexec_b32 s9, s2
; %bb.546:
	v_bfe_u32 v2, v0, 20, 1
	s_delay_alu instid0(VALU_DEP_1) | instskip(NEXT) | instid1(VALU_DEP_1)
	v_add_co_u32 v2, s2, v0, v2
	v_add_co_u32 v2, s2, v2, -1
; %bb.547:
	s_or_b32 exec_lo, exec_lo, s9
	v_add_nc_u32_e32 v3, 0xffffff81, v13
	v_lshrrev_b32_e32 v13, 23, v0
	s_delay_alu instid0(VALU_DEP_3) | instskip(SKIP_1) | instid1(VALU_DEP_3)
	v_and_b32_e32 v2, 0xfffff, v2
	s_mov_b32 s2, exec_lo
	v_cndmask_b32_e64 v3, v3, 0xffffff82, vcc_lo
	s_delay_alu instid0(VALU_DEP_2) | instskip(SKIP_1) | instid1(VALU_DEP_3)
	v_add_co_u32 v0, vcc_lo, v2, v0
	v_add_co_ci_u32_e32 v1, vcc_lo, 0, v1, vcc_lo
	v_add3_u32 v3, v21, v3, v13
                                        ; implicit-def: $vgpr2
	s_delay_alu instid0(VALU_DEP_1) | instskip(NEXT) | instid1(VALU_DEP_1)
	v_add_nc_u32_e32 v13, 6, v3
	v_cmpx_ne_u32_e32 0, v13
	s_xor_b32 s2, exec_lo, s2
; %bb.548:
	v_cmp_lt_u64_e32 vcc_lo, 0xffffff, v[0:1]
	v_add_nc_u32_e32 v2, 7, v3
	v_cndmask_b32_e64 v3, 0, 1, vcc_lo
	s_delay_alu instid0(VALU_DEP_2) | instskip(NEXT) | instid1(VALU_DEP_2)
	v_cndmask_b32_e32 v2, v13, v2, vcc_lo
	v_lshrrev_b64 v[0:1], v3, v[0:1]
; %bb.549:
	s_and_not1_saveexec_b32 s2, s2
; %bb.550:
	s_delay_alu instid0(VALU_DEP_1)
	v_bfe_u32 v2, v0, 23, 1
; %bb.551:
	s_or_b32 exec_lo, exec_lo, s2
	s_delay_alu instid0(VALU_DEP_2) | instskip(NEXT) | instid1(VALU_DEP_2)
	v_lshrrev_b64 v[0:1], 20, v[0:1]
	v_cmp_gt_i32_e32 vcc_lo, 16, v2
	v_cmp_ne_u32_e64 s2, 0, v2
                                        ; implicit-def: $vgpr13
	s_delay_alu instid0(VALU_DEP_3) | instskip(NEXT) | instid1(VALU_DEP_1)
	v_dual_cndmask_b32 v1, 0, v1 :: v_dual_cndmask_b32 v0, 7, v0
	v_cmp_ne_u64_e32 vcc_lo, 0, v[0:1]
	s_delay_alu instid0(VALU_DEP_3) | instskip(NEXT) | instid1(SALU_CYCLE_1)
	s_or_b32 s2, s2, vcc_lo
	s_and_saveexec_b32 s9, s2
	s_delay_alu instid0(SALU_CYCLE_1)
	s_xor_b32 s2, exec_lo, s9
; %bb.552:
	v_min_i32_e32 v1, 15, v2
	s_delay_alu instid0(VALU_DEP_1) | instskip(NEXT) | instid1(VALU_DEP_1)
	v_lshl_or_b32 v1, v1, 3, v20
                                        ; implicit-def: $vgpr20
	v_and_or_b32 v13, v0, 7, v1
; %bb.553:
	s_and_not1_saveexec_b32 s2, s2
; %bb.554:
	v_mov_b32_e32 v13, v20
; %bb.555:
	s_or_b32 exec_lo, exec_lo, s2
.LBB12_556:
	s_delay_alu instid0(SALU_CYCLE_1)
	s_or_b32 exec_lo, exec_lo, s8
.LBB12_557:
	s_and_not1_saveexec_b32 s2, s5
	s_delay_alu instid0(SALU_CYCLE_1)
	s_or_b32 exec_lo, exec_lo, s2
                                        ; implicit-def: $vgpr3
                                        ; implicit-def: $vgpr0_vgpr1
.LBB12_558:
	s_and_not1_saveexec_b32 s2, s4
; %bb.559:
	v_cmp_eq_u64_e32 vcc_lo, 0, v[0:1]
	v_or_b32_e32 v2, 0x7f, v3
	s_delay_alu instid0(VALU_DEP_1)
	v_cndmask_b32_e32 v13, v2, v13, vcc_lo
; %bb.560:
	s_or_b32 exec_lo, exec_lo, s2
	v_dual_mul_f32 v0, s3, v14 :: v_dual_mov_b32 v1, 0
	s_mov_b32 s2, 0xc3e00000
	s_delay_alu instid0(VALU_DEP_1) | instid1(SALU_CYCLE_1)
	v_maxmin_f32 v2, v0, s2, 0x43e00000
	s_mov_b32 s2, exec_lo
	s_delay_alu instid0(VALU_DEP_2) | instskip(NEXT) | instid1(VALU_DEP_2)
	v_mov_b32_e32 v22, v1
	v_lshrrev_b32_e32 v3, 24, v2
	v_and_b32_e32 v21, 0x7f800000, v2
	v_and_b32_e32 v0, 0x7fffff, v2
	s_delay_alu instid0(VALU_DEP_3) | instskip(NEXT) | instid1(VALU_DEP_1)
	v_and_b32_e32 v20, 0x80, v3
	v_or_b32_e32 v14, 0x7e, v20
	s_delay_alu instid0(VALU_DEP_4)
	v_cmpx_ne_u64_e32 0x7f800000, v[21:22]
	s_xor_b32 s4, exec_lo, s2
	s_cbranch_execz .LBB12_576
; %bb.561:
	v_dual_mov_b32 v22, v1 :: v_dual_and_b32 v21, 0x7fffffff, v2
	s_mov_b32 s2, exec_lo
	s_delay_alu instid0(VALU_DEP_1)
	v_cmpx_gt_u64_e32 0x43e00001, v[21:22]
	s_xor_b32 s5, exec_lo, s2
	s_cbranch_execz .LBB12_575
; %bb.562:
	v_mov_b32_e32 v14, 0
	s_mov_b32 s8, exec_lo
	v_cmpx_ne_u32_e32 0, v2
	s_cbranch_execz .LBB12_574
; %bb.563:
	v_bfe_u32 v14, v2, 23, 8
	v_or_b32_e32 v22, 0x800000, v0
	s_delay_alu instid0(VALU_DEP_2) | instskip(SKIP_1) | instid1(VALU_DEP_2)
	v_sub_nc_u32_e32 v2, 0x79, v14
	v_cmp_gt_u32_e32 vcc_lo, 0x7a, v14
	v_cndmask_b32_e32 v2, 0, v2, vcc_lo
	v_cmp_eq_u32_e32 vcc_lo, 0, v14
	s_delay_alu instid0(VALU_DEP_2) | instskip(SKIP_1) | instid1(VALU_DEP_2)
	v_cndmask_b32_e64 v21, v2, 0x78, vcc_lo
	v_cndmask_b32_e32 v0, v22, v0, vcc_lo
	v_add_nc_u32_e32 v2, 20, v21
	v_add_nc_u32_e32 v22, 19, v21
	s_delay_alu instid0(VALU_DEP_2) | instskip(NEXT) | instid1(VALU_DEP_1)
	v_lshlrev_b64 v[2:3], v2, -1
	v_not_b32_e32 v24, v2
	s_delay_alu instid0(VALU_DEP_2) | instskip(NEXT) | instid1(VALU_DEP_4)
	v_not_b32_e32 v23, v3
	v_lshlrev_b64 v[2:3], v22, 1
	s_delay_alu instid0(VALU_DEP_3) | instskip(SKIP_1) | instid1(VALU_DEP_4)
	v_and_b32_e32 v22, v0, v24
	v_lshrrev_b64 v[0:1], v21, v[0:1]
	v_and_b32_e32 v23, 0, v23
	s_delay_alu instid0(VALU_DEP_1) | instskip(NEXT) | instid1(VALU_DEP_3)
	v_cmp_eq_u64_e64 s2, v[22:23], v[2:3]
	v_dual_mov_b32 v3, v1 :: v_dual_mov_b32 v2, v0
	s_delay_alu instid0(VALU_DEP_2)
	s_and_saveexec_b32 s9, s2
; %bb.564:
	v_bfe_u32 v2, v0, 20, 1
	s_delay_alu instid0(VALU_DEP_1) | instskip(NEXT) | instid1(VALU_DEP_1)
	v_add_co_u32 v2, s2, v0, v2
	v_add_co_u32 v2, s2, v2, -1
; %bb.565:
	s_or_b32 exec_lo, exec_lo, s9
	v_add_nc_u32_e32 v3, 0xffffff81, v14
	v_lshrrev_b32_e32 v14, 23, v0
	s_delay_alu instid0(VALU_DEP_3) | instskip(SKIP_1) | instid1(VALU_DEP_3)
	v_and_b32_e32 v2, 0xfffff, v2
	s_mov_b32 s2, exec_lo
	v_cndmask_b32_e64 v3, v3, 0xffffff82, vcc_lo
	s_delay_alu instid0(VALU_DEP_2) | instskip(SKIP_1) | instid1(VALU_DEP_3)
	v_add_co_u32 v0, vcc_lo, v2, v0
	v_add_co_ci_u32_e32 v1, vcc_lo, 0, v1, vcc_lo
	v_add3_u32 v3, v21, v3, v14
                                        ; implicit-def: $vgpr2
	s_delay_alu instid0(VALU_DEP_1) | instskip(NEXT) | instid1(VALU_DEP_1)
	v_add_nc_u32_e32 v14, 6, v3
	v_cmpx_ne_u32_e32 0, v14
	s_xor_b32 s2, exec_lo, s2
; %bb.566:
	v_cmp_lt_u64_e32 vcc_lo, 0xffffff, v[0:1]
	v_add_nc_u32_e32 v2, 7, v3
	v_cndmask_b32_e64 v3, 0, 1, vcc_lo
	s_delay_alu instid0(VALU_DEP_2) | instskip(NEXT) | instid1(VALU_DEP_2)
	v_cndmask_b32_e32 v2, v14, v2, vcc_lo
	v_lshrrev_b64 v[0:1], v3, v[0:1]
; %bb.567:
	s_and_not1_saveexec_b32 s2, s2
; %bb.568:
	s_delay_alu instid0(VALU_DEP_1)
	v_bfe_u32 v2, v0, 23, 1
; %bb.569:
	s_or_b32 exec_lo, exec_lo, s2
	s_delay_alu instid0(VALU_DEP_2) | instskip(NEXT) | instid1(VALU_DEP_2)
	v_lshrrev_b64 v[0:1], 20, v[0:1]
	v_cmp_gt_i32_e32 vcc_lo, 16, v2
	v_cmp_ne_u32_e64 s2, 0, v2
                                        ; implicit-def: $vgpr14
	s_delay_alu instid0(VALU_DEP_3) | instskip(NEXT) | instid1(VALU_DEP_1)
	v_dual_cndmask_b32 v1, 0, v1 :: v_dual_cndmask_b32 v0, 7, v0
	v_cmp_ne_u64_e32 vcc_lo, 0, v[0:1]
	s_delay_alu instid0(VALU_DEP_3) | instskip(NEXT) | instid1(SALU_CYCLE_1)
	s_or_b32 s2, s2, vcc_lo
	s_and_saveexec_b32 s9, s2
	s_delay_alu instid0(SALU_CYCLE_1)
	s_xor_b32 s2, exec_lo, s9
; %bb.570:
	v_min_i32_e32 v1, 15, v2
	s_delay_alu instid0(VALU_DEP_1) | instskip(NEXT) | instid1(VALU_DEP_1)
	v_lshl_or_b32 v1, v1, 3, v20
                                        ; implicit-def: $vgpr20
	v_and_or_b32 v14, v0, 7, v1
; %bb.571:
	s_and_not1_saveexec_b32 s2, s2
; %bb.572:
	v_mov_b32_e32 v14, v20
; %bb.573:
	s_or_b32 exec_lo, exec_lo, s2
.LBB12_574:
	s_delay_alu instid0(SALU_CYCLE_1)
	s_or_b32 exec_lo, exec_lo, s8
.LBB12_575:
	s_and_not1_saveexec_b32 s2, s5
	s_delay_alu instid0(SALU_CYCLE_1)
	s_or_b32 exec_lo, exec_lo, s2
                                        ; implicit-def: $vgpr3
                                        ; implicit-def: $vgpr0_vgpr1
.LBB12_576:
	s_and_not1_saveexec_b32 s2, s4
; %bb.577:
	v_cmp_eq_u64_e32 vcc_lo, 0, v[0:1]
	v_or_b32_e32 v2, 0x7f, v3
	s_delay_alu instid0(VALU_DEP_1)
	v_cndmask_b32_e32 v14, v2, v14, vcc_lo
; %bb.578:
	s_or_b32 exec_lo, exec_lo, s2
	v_dual_mul_f32 v0, s3, v15 :: v_dual_mov_b32 v1, 0
	s_mov_b32 s2, 0xc3e00000
	s_delay_alu instid0(VALU_DEP_1) | instid1(SALU_CYCLE_1)
	v_maxmin_f32 v3, v0, s2, 0x43e00000
	s_mov_b32 s2, exec_lo
	s_delay_alu instid0(VALU_DEP_2) | instskip(NEXT) | instid1(VALU_DEP_2)
	v_mov_b32_e32 v22, v1
	v_lshrrev_b32_e32 v20, 24, v3
	v_and_b32_e32 v21, 0x7f800000, v3
	v_and_b32_e32 v0, 0x7fffff, v3
	s_delay_alu instid0(VALU_DEP_3) | instskip(NEXT) | instid1(VALU_DEP_1)
	v_and_b32_e32 v15, 0x80, v20
	v_or_b32_e32 v2, 0x7e, v15
	s_delay_alu instid0(VALU_DEP_4)
	v_cmpx_ne_u64_e32 0x7f800000, v[21:22]
	s_xor_b32 s3, exec_lo, s2
	s_cbranch_execz .LBB12_594
; %bb.579:
	v_dual_mov_b32 v21, v1 :: v_dual_and_b32 v20, 0x7fffffff, v3
	s_mov_b32 s2, exec_lo
	s_delay_alu instid0(VALU_DEP_1)
	v_cmpx_gt_u64_e32 0x43e00001, v[20:21]
	s_xor_b32 s4, exec_lo, s2
	s_cbranch_execz .LBB12_593
; %bb.580:
	v_mov_b32_e32 v2, 0
	s_mov_b32 s5, exec_lo
	v_cmpx_ne_u32_e32 0, v3
	s_cbranch_execz .LBB12_592
; %bb.581:
	v_bfe_u32 v20, v3, 23, 8
	v_or_b32_e32 v22, 0x800000, v0
	s_delay_alu instid0(VALU_DEP_2) | instskip(SKIP_1) | instid1(VALU_DEP_2)
	v_sub_nc_u32_e32 v2, 0x79, v20
	v_cmp_gt_u32_e32 vcc_lo, 0x7a, v20
	v_cndmask_b32_e32 v2, 0, v2, vcc_lo
	v_cmp_eq_u32_e32 vcc_lo, 0, v20
	s_delay_alu instid0(VALU_DEP_2) | instskip(SKIP_1) | instid1(VALU_DEP_2)
	v_cndmask_b32_e64 v21, v2, 0x78, vcc_lo
	v_cndmask_b32_e32 v0, v22, v0, vcc_lo
	v_add_nc_u32_e32 v2, 20, v21
	v_add_nc_u32_e32 v22, 19, v21
	s_delay_alu instid0(VALU_DEP_2) | instskip(NEXT) | instid1(VALU_DEP_1)
	v_lshlrev_b64 v[2:3], v2, -1
	v_not_b32_e32 v24, v2
	s_delay_alu instid0(VALU_DEP_2) | instskip(NEXT) | instid1(VALU_DEP_4)
	v_not_b32_e32 v23, v3
	v_lshlrev_b64 v[2:3], v22, 1
	s_delay_alu instid0(VALU_DEP_3) | instskip(SKIP_1) | instid1(VALU_DEP_4)
	v_and_b32_e32 v22, v0, v24
	v_lshrrev_b64 v[0:1], v21, v[0:1]
	v_and_b32_e32 v23, 0, v23
	s_delay_alu instid0(VALU_DEP_1) | instskip(NEXT) | instid1(VALU_DEP_3)
	v_cmp_eq_u64_e64 s2, v[22:23], v[2:3]
	v_dual_mov_b32 v3, v1 :: v_dual_mov_b32 v2, v0
	s_delay_alu instid0(VALU_DEP_2)
	s_and_saveexec_b32 s8, s2
; %bb.582:
	v_bfe_u32 v2, v0, 20, 1
	s_delay_alu instid0(VALU_DEP_1) | instskip(NEXT) | instid1(VALU_DEP_1)
	v_add_co_u32 v2, s2, v0, v2
	v_add_co_u32 v2, s2, v2, -1
; %bb.583:
	s_or_b32 exec_lo, exec_lo, s8
	v_add_nc_u32_e32 v3, 0xffffff81, v20
	v_lshrrev_b32_e32 v20, 23, v0
	s_mov_b32 s2, exec_lo
	s_delay_alu instid0(VALU_DEP_2) | instskip(NEXT) | instid1(VALU_DEP_1)
	v_cndmask_b32_e64 v3, v3, 0xffffff82, vcc_lo
	v_add3_u32 v20, v21, v3, v20
	v_and_b32_e32 v3, 0xfffff, v2
	s_delay_alu instid0(VALU_DEP_2) | instskip(NEXT) | instid1(VALU_DEP_2)
	v_add_nc_u32_e32 v2, 6, v20
	v_add_co_u32 v0, vcc_lo, v3, v0
	v_add_co_ci_u32_e32 v1, vcc_lo, 0, v1, vcc_lo
                                        ; implicit-def: $vgpr3
	s_delay_alu instid0(VALU_DEP_3)
	v_cmpx_ne_u32_e32 0, v2
	s_xor_b32 s2, exec_lo, s2
; %bb.584:
	s_delay_alu instid0(VALU_DEP_2) | instskip(SKIP_1) | instid1(VALU_DEP_1)
	v_cmp_lt_u64_e32 vcc_lo, 0xffffff, v[0:1]
	v_add_nc_u32_e32 v3, 7, v20
	v_cndmask_b32_e32 v3, v2, v3, vcc_lo
	v_cndmask_b32_e64 v2, 0, 1, vcc_lo
	s_delay_alu instid0(VALU_DEP_1)
	v_lshrrev_b64 v[0:1], v2, v[0:1]
; %bb.585:
	s_and_not1_saveexec_b32 s2, s2
; %bb.586:
	s_delay_alu instid0(VALU_DEP_1)
	v_bfe_u32 v3, v0, 23, 1
; %bb.587:
	s_or_b32 exec_lo, exec_lo, s2
	s_delay_alu instid0(VALU_DEP_2) | instskip(NEXT) | instid1(VALU_DEP_2)
	v_lshrrev_b64 v[0:1], 20, v[0:1]
	v_cmp_gt_i32_e32 vcc_lo, 16, v3
	v_cmp_ne_u32_e64 s2, 0, v3
                                        ; implicit-def: $vgpr2
	s_delay_alu instid0(VALU_DEP_3) | instskip(NEXT) | instid1(VALU_DEP_1)
	v_dual_cndmask_b32 v1, 0, v1 :: v_dual_cndmask_b32 v0, 7, v0
	v_cmp_ne_u64_e32 vcc_lo, 0, v[0:1]
	s_delay_alu instid0(VALU_DEP_3) | instskip(NEXT) | instid1(SALU_CYCLE_1)
	s_or_b32 s2, s2, vcc_lo
	s_and_saveexec_b32 s8, s2
	s_delay_alu instid0(SALU_CYCLE_1)
	s_xor_b32 s2, exec_lo, s8
; %bb.588:
	v_min_i32_e32 v1, 15, v3
	s_delay_alu instid0(VALU_DEP_1) | instskip(NEXT) | instid1(VALU_DEP_1)
	v_lshl_or_b32 v1, v1, 3, v15
                                        ; implicit-def: $vgpr15
	v_and_or_b32 v2, v0, 7, v1
; %bb.589:
	s_and_not1_saveexec_b32 s2, s2
; %bb.590:
	v_mov_b32_e32 v2, v15
; %bb.591:
	s_or_b32 exec_lo, exec_lo, s2
.LBB12_592:
	s_delay_alu instid0(SALU_CYCLE_1)
	s_or_b32 exec_lo, exec_lo, s5
.LBB12_593:
	s_and_not1_saveexec_b32 s2, s4
	s_delay_alu instid0(SALU_CYCLE_1)
	s_or_b32 exec_lo, exec_lo, s2
                                        ; implicit-def: $vgpr20
                                        ; implicit-def: $vgpr0_vgpr1
.LBB12_594:
	s_or_saveexec_b32 s2, s3
	s_load_b64 s[4:5], s[0:1], 0x8
	s_xor_b32 exec_lo, exec_lo, s2
; %bb.595:
	v_cmp_eq_u64_e32 vcc_lo, 0, v[0:1]
	v_or_b32_e32 v3, 0x7f, v20
	s_delay_alu instid0(VALU_DEP_1)
	v_cndmask_b32_e32 v2, v3, v2, vcc_lo
; %bb.596:
	s_or_b32 exec_lo, exec_lo, s2
	s_load_b128 s[0:3], s[0:1], 0x10
	v_lshlrev_b16 v3, 8, v19
	v_and_b32_e32 v15, 0xff, v18
	v_lshlrev_b16 v17, 8, v17
	v_and_b32_e32 v16, 0xff, v16
	;; [unrolled: 2-line block ×8, first 2 shown]
	v_or_b32_e32 v3, v15, v3
	v_or_b32_e32 v15, v16, v17
	;; [unrolled: 1-line block ×3, first 2 shown]
	s_waitcnt lgkmcnt(0)
	v_mad_u64_u32 v[0:1], null, v33, s0, s[4:5]
	v_mul_lo_u32 v18, v33, s1
	v_mul_lo_u32 v19, v34, s0
	v_or_b32_e32 v5, v6, v7
	v_or_b32_e32 v6, v8, v9
	;; [unrolled: 1-line block ×3, first 2 shown]
	v_mul_lo_u32 v8, v31, s3
	v_mul_lo_u32 v9, v32, s2
	v_and_b32_e32 v3, 0xffff, v3
	v_lshlrev_b32_e32 v7, 16, v15
	v_add3_u32 v1, v19, v1, v18
	v_and_b32_e32 v4, 0xffff, v4
	v_lshlrev_b32_e32 v5, 16, v5
	v_and_b32_e32 v6, 0xffff, v6
	v_lshlrev_b32_e32 v2, 16, v2
	v_mad_u64_u32 v[20:21], null, v31, s2, v[0:1]
	v_or_b32_e32 v0, v10, v11
	v_or_b32_e32 v1, v12, v13
	;; [unrolled: 1-line block ×4, first 2 shown]
	s_or_b32 s6, s6, exec_lo
	v_lshlrev_b32_e32 v0, 16, v0
	v_and_b32_e32 v1, 0xffff, v1
	v_add3_u32 v21, v9, v21, v8
	s_delay_alu instid0(VALU_DEP_3) | instskip(NEXT) | instid1(VALU_DEP_3)
	v_or_b32_e32 v18, v6, v0
	v_or_b32_e32 v19, v1, v2
	s_or_b32 exec_lo, exec_lo, s7
	s_delay_alu instid0(SALU_CYCLE_1)
	s_and_b32 exec_lo, exec_lo, s6
	s_cbranch_execnz .LBB12_11
	s_branch .LBB12_12
	.section	.rodata,"a",@progbits
	.p2align	6, 0x0
	.amdhsa_kernel _ZN4vllm21deepseek_v4_fused_ops30fusedDeepseekV4FullCacheKernelIN3c104HalfELb1ELb1EEEvPT_PhllPKS4_S6_PKlSA_PKfSC_SC_fiiiill
		.amdhsa_group_segment_fixed_size 0
		.amdhsa_private_segment_fixed_size 0
		.amdhsa_kernarg_size 384
		.amdhsa_user_sgpr_count 15
		.amdhsa_user_sgpr_dispatch_ptr 0
		.amdhsa_user_sgpr_queue_ptr 0
		.amdhsa_user_sgpr_kernarg_segment_ptr 1
		.amdhsa_user_sgpr_dispatch_id 0
		.amdhsa_user_sgpr_private_segment_size 0
		.amdhsa_wavefront_size32 1
		.amdhsa_uses_dynamic_stack 0
		.amdhsa_enable_private_segment 0
		.amdhsa_system_sgpr_workgroup_id_x 1
		.amdhsa_system_sgpr_workgroup_id_y 0
		.amdhsa_system_sgpr_workgroup_id_z 0
		.amdhsa_system_sgpr_workgroup_info 0
		.amdhsa_system_vgpr_workitem_id 0
		.amdhsa_next_free_vgpr 54
		.amdhsa_next_free_sgpr 16
		.amdhsa_reserve_vcc 1
		.amdhsa_float_round_mode_32 0
		.amdhsa_float_round_mode_16_64 0
		.amdhsa_float_denorm_mode_32 3
		.amdhsa_float_denorm_mode_16_64 3
		.amdhsa_dx10_clamp 1
		.amdhsa_ieee_mode 1
		.amdhsa_fp16_overflow 0
		.amdhsa_workgroup_processor_mode 1
		.amdhsa_memory_ordered 1
		.amdhsa_forward_progress 0
		.amdhsa_shared_vgpr_count 0
		.amdhsa_exception_fp_ieee_invalid_op 0
		.amdhsa_exception_fp_denorm_src 0
		.amdhsa_exception_fp_ieee_div_zero 0
		.amdhsa_exception_fp_ieee_overflow 0
		.amdhsa_exception_fp_ieee_underflow 0
		.amdhsa_exception_fp_ieee_inexact 0
		.amdhsa_exception_int_div_zero 0
	.end_amdhsa_kernel
	.section	.text._ZN4vllm21deepseek_v4_fused_ops30fusedDeepseekV4FullCacheKernelIN3c104HalfELb1ELb1EEEvPT_PhllPKS4_S6_PKlSA_PKfSC_SC_fiiiill,"axG",@progbits,_ZN4vllm21deepseek_v4_fused_ops30fusedDeepseekV4FullCacheKernelIN3c104HalfELb1ELb1EEEvPT_PhllPKS4_S6_PKlSA_PKfSC_SC_fiiiill,comdat
.Lfunc_end12:
	.size	_ZN4vllm21deepseek_v4_fused_ops30fusedDeepseekV4FullCacheKernelIN3c104HalfELb1ELb1EEEvPT_PhllPKS4_S6_PKlSA_PKfSC_SC_fiiiill, .Lfunc_end12-_ZN4vllm21deepseek_v4_fused_ops30fusedDeepseekV4FullCacheKernelIN3c104HalfELb1ELb1EEEvPT_PhllPKS4_S6_PKlSA_PKfSC_SC_fiiiill
                                        ; -- End function
	.section	.AMDGPU.csdata,"",@progbits
; Kernel info:
; codeLenInByte = 23276
; NumSgprs: 18
; NumVgprs: 54
; ScratchSize: 0
; MemoryBound: 0
; FloatMode: 240
; IeeeMode: 1
; LDSByteSize: 0 bytes/workgroup (compile time only)
; SGPRBlocks: 2
; VGPRBlocks: 6
; NumSGPRsForWavesPerEU: 18
; NumVGPRsForWavesPerEU: 54
; Occupancy: 16
; WaveLimiterHint : 1
; COMPUTE_PGM_RSRC2:SCRATCH_EN: 0
; COMPUTE_PGM_RSRC2:USER_SGPR: 15
; COMPUTE_PGM_RSRC2:TRAP_HANDLER: 0
; COMPUTE_PGM_RSRC2:TGID_X_EN: 1
; COMPUTE_PGM_RSRC2:TGID_Y_EN: 0
; COMPUTE_PGM_RSRC2:TGID_Z_EN: 0
; COMPUTE_PGM_RSRC2:TIDIG_COMP_CNT: 0
	.section	.text._ZN4vllm21deepseek_v4_fused_ops30fusedDeepseekV4FullCacheKernelIN3c108BFloat16ELb1ELb1EEEvPT_PhllPKS4_S6_PKlSA_PKfSC_SC_fiiiill,"axG",@progbits,_ZN4vllm21deepseek_v4_fused_ops30fusedDeepseekV4FullCacheKernelIN3c108BFloat16ELb1ELb1EEEvPT_PhllPKS4_S6_PKlSA_PKfSC_SC_fiiiill,comdat
	.protected	_ZN4vllm21deepseek_v4_fused_ops30fusedDeepseekV4FullCacheKernelIN3c108BFloat16ELb1ELb1EEEvPT_PhllPKS4_S6_PKlSA_PKfSC_SC_fiiiill ; -- Begin function _ZN4vllm21deepseek_v4_fused_ops30fusedDeepseekV4FullCacheKernelIN3c108BFloat16ELb1ELb1EEEvPT_PhllPKS4_S6_PKlSA_PKfSC_SC_fiiiill
	.globl	_ZN4vllm21deepseek_v4_fused_ops30fusedDeepseekV4FullCacheKernelIN3c108BFloat16ELb1ELb1EEEvPT_PhllPKS4_S6_PKlSA_PKfSC_SC_fiiiill
	.p2align	8
	.type	_ZN4vllm21deepseek_v4_fused_ops30fusedDeepseekV4FullCacheKernelIN3c108BFloat16ELb1ELb1EEEvPT_PhllPKS4_S6_PKlSA_PKfSC_SC_fiiiill,@function
_ZN4vllm21deepseek_v4_fused_ops30fusedDeepseekV4FullCacheKernelIN3c108BFloat16ELb1ELb1EEEvPT_PhllPKS4_S6_PKlSA_PKfSC_SC_fiiiill: ; @_ZN4vllm21deepseek_v4_fused_ops30fusedDeepseekV4FullCacheKernelIN3c108BFloat16ELb1ELb1EEEvPT_PhllPKS4_S6_PKlSA_PKfSC_SC_fiiiill
; %bb.0:
	s_clause 0x1
	s_load_b128 s[4:7], s[0:1], 0x58
	s_load_b32 s3, s[0:1], 0x8c
	v_lshrrev_b32_e32 v3, 5, v0
	s_waitcnt lgkmcnt(0)
	s_add_i32 s2, s7, 1
	s_bfe_u32 s3, s3, 0xb0005
	s_abs_i32 s8, s2
	s_delay_alu instid0(SALU_CYCLE_1) | instskip(SKIP_1) | instid1(VALU_DEP_1)
	v_cvt_f32_u32_e32 v1, s8
	s_sub_i32 s9, 0, s8
	v_rcp_iflag_f32_e32 v1, v1
	s_waitcnt_depctr 0xfff
	v_mul_f32_e32 v1, 0x4f7ffffe, v1
	s_delay_alu instid0(VALU_DEP_1) | instskip(NEXT) | instid1(VALU_DEP_1)
	v_cvt_u32_f32_e32 v4, v1
	v_mul_lo_u32 v5, s9, v4
	v_mad_u64_u32 v[1:2], null, s15, s3, v[3:4]
	s_mov_b32 s3, exec_lo
	s_delay_alu instid0(VALU_DEP_2) | instskip(NEXT) | instid1(VALU_DEP_2)
	v_mul_hi_u32 v2, v4, v5
	v_sub_nc_u32_e32 v3, 0, v1
	s_delay_alu instid0(VALU_DEP_1) | instskip(NEXT) | instid1(VALU_DEP_3)
	v_max_i32_e32 v3, v1, v3
	v_add_nc_u32_e32 v2, v4, v2
	s_delay_alu instid0(VALU_DEP_1) | instskip(NEXT) | instid1(VALU_DEP_1)
	v_mul_hi_u32 v2, v3, v2
	v_mul_lo_u32 v4, v2, s8
	s_delay_alu instid0(VALU_DEP_1) | instskip(NEXT) | instid1(VALU_DEP_1)
	v_sub_nc_u32_e32 v3, v3, v4
	v_subrev_nc_u32_e32 v5, s8, v3
	v_cmp_le_u32_e32 vcc_lo, s8, v3
	s_delay_alu instid0(VALU_DEP_2) | instskip(NEXT) | instid1(VALU_DEP_1)
	v_dual_cndmask_b32 v3, v3, v5 :: v_dual_add_nc_u32 v4, 1, v2
	v_cndmask_b32_e32 v2, v2, v4, vcc_lo
	v_xor_b32_e32 v4, s2, v1
	s_delay_alu instid0(VALU_DEP_3) | instskip(NEXT) | instid1(VALU_DEP_3)
	v_cmp_le_u32_e32 vcc_lo, s8, v3
	v_add_nc_u32_e32 v5, 1, v2
	s_delay_alu instid0(VALU_DEP_3) | instskip(NEXT) | instid1(VALU_DEP_2)
	v_ashrrev_i32_e32 v4, 31, v4
	v_cndmask_b32_e32 v2, v2, v5, vcc_lo
	s_delay_alu instid0(VALU_DEP_1) | instskip(NEXT) | instid1(VALU_DEP_1)
	v_xor_b32_e32 v2, v2, v4
	v_sub_nc_u32_e32 v33, v2, v4
	s_delay_alu instid0(VALU_DEP_1)
	v_cmpx_gt_i32_e64 s5, v33
	s_cbranch_execz .LBB13_12
; %bb.1:
	v_mul_lo_u32 v2, v33, s2
	s_load_b32 s10, s[0:1], 0x68
	v_cmp_gt_i32_e64 s3, s6, v33
	s_delay_alu instid0(VALU_DEP_2) | instskip(NEXT) | instid1(VALU_DEP_1)
	v_sub_nc_u32_e32 v31, v1, v2
	v_cmp_ne_u32_e64 s2, s7, v31
	v_cmp_eq_u32_e32 vcc_lo, s7, v31
	s_delay_alu instid0(VALU_DEP_2) | instskip(NEXT) | instid1(SALU_CYCLE_1)
	s_or_b32 s3, s3, s2
	s_and_b32 exec_lo, exec_lo, s3
	s_cbranch_execz .LBB13_12
; %bb.2:
	s_load_b64 s[8:9], s[0:1], 0x20
	v_ashrrev_i32_e32 v34, 31, v33
	v_ashrrev_i32_e32 v32, 31, v31
	s_delay_alu instid0(VALU_DEP_2)
	v_dual_mov_b32 v3, v33 :: v_dual_mov_b32 v4, v34
	s_waitcnt lgkmcnt(0)
	v_dual_mov_b32 v1, s8 :: v_dual_mov_b32 v2, s9
	s_and_saveexec_b32 s3, s2
	s_cbranch_execz .LBB13_4
; %bb.3:
	s_load_b64 s[8:9], s[0:1], 0x0
	v_mad_i64_i32 v[3:4], null, v33, s7, v[31:32]
	s_waitcnt lgkmcnt(0)
	v_dual_mov_b32 v1, s8 :: v_dual_mov_b32 v2, s9
.LBB13_4:
	s_or_b32 exec_lo, exec_lo, s3
	v_lshlrev_b32_e32 v0, 4, v0
	s_delay_alu instid0(VALU_DEP_3) | instskip(NEXT) | instid1(VALU_DEP_2)
	v_lshlrev_b64 v[3:4], 10, v[3:4]
	v_and_b32_e32 v37, 0x1f0, v0
	s_delay_alu instid0(VALU_DEP_2) | instskip(NEXT) | instid1(VALU_DEP_1)
	v_add_co_u32 v1, s3, v1, v3
	v_add_co_ci_u32_e64 v2, s3, v2, v4, s3
	s_delay_alu instid0(VALU_DEP_3) | instskip(NEXT) | instid1(VALU_DEP_1)
	v_lshlrev_b32_e32 v0, 1, v37
	v_add_co_u32 v0, s3, v1, v0
	s_delay_alu instid0(VALU_DEP_1)
	v_add_co_ci_u32_e64 v1, s3, 0, v2, s3
	s_clause 0x1
	global_load_b128 v[4:7], v[0:1], off
	global_load_b128 v[12:15], v[0:1], off offset:16
	s_waitcnt vmcnt(1)
	v_lshlrev_b32_e32 v0, 16, v4
	v_and_b32_e32 v1, 0xffff0000, v4
	v_lshlrev_b32_e32 v2, 16, v5
	v_and_b32_e32 v3, 0xffff0000, v5
	;; [unrolled: 2-line block ×4, first 2 shown]
	s_waitcnt vmcnt(0)
	v_lshlrev_b32_e32 v8, 16, v12
	v_and_b32_e32 v9, 0xffff0000, v12
	v_lshlrev_b32_e32 v10, 16, v13
	v_and_b32_e32 v11, 0xffff0000, v13
	;; [unrolled: 2-line block ×4, first 2 shown]
	s_and_saveexec_b32 s3, s2
	s_cbranch_execz .LBB13_6
; %bb.5:
	v_mbcnt_lo_u32_b32 v17, -1, 0
	s_delay_alu instid0(VALU_DEP_1) | instskip(SKIP_1) | instid1(VALU_DEP_2)
	v_xor_b32_e32 v18, 16, v17
	v_xor_b32_e32 v19, 8, v17
	v_cmp_gt_i32_e64 s2, 32, v18
	s_delay_alu instid0(VALU_DEP_1) | instskip(NEXT) | instid1(VALU_DEP_3)
	v_cndmask_b32_e64 v18, v17, v18, s2
	v_cmp_gt_i32_e64 s2, 32, v19
	s_delay_alu instid0(VALU_DEP_2) | instskip(NEXT) | instid1(VALU_DEP_2)
	v_lshlrev_b32_e32 v18, 2, v18
	v_cndmask_b32_e64 v19, v17, v19, s2
	s_delay_alu instid0(VALU_DEP_1) | instskip(NEXT) | instid1(VALU_DEP_1)
	v_dual_mul_f32 v16, v1, v1 :: v_dual_lshlrev_b32 v19, 2, v19
	v_fmac_f32_e32 v16, v0, v0
	s_delay_alu instid0(VALU_DEP_1) | instskip(NEXT) | instid1(VALU_DEP_1)
	v_fmac_f32_e32 v16, v2, v2
	v_fmac_f32_e32 v16, v3, v3
	s_delay_alu instid0(VALU_DEP_1) | instskip(NEXT) | instid1(VALU_DEP_1)
	v_fmac_f32_e32 v16, v4, v4
	;; [unrolled: 3-line block ×7, first 2 shown]
	v_fmac_f32_e32 v16, v15, v15
	ds_bpermute_b32 v18, v18, v16
	s_waitcnt lgkmcnt(0)
	v_add_f32_e32 v16, v16, v18
	ds_bpermute_b32 v18, v19, v16
	v_xor_b32_e32 v19, 4, v17
	s_delay_alu instid0(VALU_DEP_1) | instskip(NEXT) | instid1(VALU_DEP_1)
	v_cmp_gt_i32_e64 s2, 32, v19
	v_cndmask_b32_e64 v19, v17, v19, s2
	s_waitcnt lgkmcnt(0)
	s_delay_alu instid0(VALU_DEP_1) | instskip(SKIP_2) | instid1(VALU_DEP_1)
	v_dual_add_f32 v16, v16, v18 :: v_dual_lshlrev_b32 v19, 2, v19
	ds_bpermute_b32 v18, v19, v16
	v_xor_b32_e32 v19, 2, v17
	v_cmp_gt_i32_e64 s2, 32, v19
	s_delay_alu instid0(VALU_DEP_1) | instskip(SKIP_1) | instid1(VALU_DEP_1)
	v_cndmask_b32_e64 v19, v17, v19, s2
	s_waitcnt lgkmcnt(0)
	v_dual_add_f32 v16, v16, v18 :: v_dual_lshlrev_b32 v19, 2, v19
	ds_bpermute_b32 v18, v19, v16
	v_xor_b32_e32 v19, 1, v17
	s_delay_alu instid0(VALU_DEP_1) | instskip(NEXT) | instid1(VALU_DEP_1)
	v_cmp_gt_i32_e64 s2, 32, v19
	v_cndmask_b32_e64 v17, v17, v19, s2
	s_waitcnt lgkmcnt(0)
	s_delay_alu instid0(VALU_DEP_1) | instskip(SKIP_4) | instid1(VALU_DEP_1)
	v_dual_add_f32 v16, v16, v18 :: v_dual_lshlrev_b32 v17, 2, v17
	v_mov_b32_e32 v18, s4
	ds_bpermute_b32 v17, v17, v16
	s_waitcnt lgkmcnt(0)
	v_add_f32_e32 v16, v16, v17
	v_fmamk_f32 v16, v16, 0x3b000000, v18
	s_delay_alu instid0(VALU_DEP_1) | instskip(SKIP_1) | instid1(VALU_DEP_1)
	v_mul_f32_e32 v17, 0x4b800000, v16
	v_cmp_gt_f32_e64 s2, 0x800000, v16
	v_cndmask_b32_e64 v16, v16, v17, s2
	s_delay_alu instid0(VALU_DEP_1) | instskip(SKIP_2) | instid1(VALU_DEP_1)
	v_rsq_f32_e32 v16, v16
	s_waitcnt_depctr 0xfff
	v_mul_f32_e32 v17, 0x45800000, v16
	v_cndmask_b32_e64 v16, v16, v17, s2
	s_delay_alu instid0(VALU_DEP_1)
	v_mul_f32_e32 v0, v16, v0
	v_mul_f32_e32 v1, v16, v1
	v_mul_f32_e32 v2, v16, v2
	v_mul_f32_e32 v3, v16, v3
	v_mul_f32_e32 v4, v16, v4
	v_mul_f32_e32 v5, v16, v5
	v_mul_f32_e32 v6, v16, v6
	v_mul_f32_e32 v7, v16, v7
	v_mul_f32_e32 v8, v16, v8
	v_mul_f32_e32 v9, v16, v9
	v_mul_f32_e32 v10, v16, v10
	v_mul_f32_e32 v11, v16, v11
	v_mul_f32_e32 v12, v16, v12
	v_mul_f32_e32 v13, v16, v13
	v_mul_f32_e32 v14, v16, v14
	v_mul_f32_e32 v15, v16, v15
.LBB13_6:
	s_or_b32 exec_lo, exec_lo, s3
	v_lshlrev_b64 v[35:36], 3, v[33:34]
	s_mov_b32 s3, exec_lo
	v_cmpx_lt_u32_e32 0x1bf, v37
	s_cbranch_execz .LBB13_8
; %bb.7:
	s_load_b128 s[4:7], s[0:1], 0x38
	v_dual_mov_b32 v19, 0 :: v_dual_add_nc_u32 v18, 0xfffffe40, v37
	s_delay_alu instid0(VALU_DEP_1) | instskip(NEXT) | instid1(VALU_DEP_1)
	v_lshrrev_b32_e32 v18, 1, v18
	v_lshlrev_b64 v[18:19], 2, v[18:19]
	s_waitcnt lgkmcnt(0)
	v_add_co_u32 v16, s2, s4, v35
	s_delay_alu instid0(VALU_DEP_1) | instskip(SKIP_3) | instid1(VALU_DEP_1)
	v_add_co_ci_u32_e64 v17, s2, s5, v36, s2
	global_load_b64 v[16:17], v[16:17], off
	s_waitcnt vmcnt(0)
	v_lshlrev_b64 v[16:17], 8, v[16:17]
	v_add_co_u32 v16, s2, s6, v16
	s_delay_alu instid0(VALU_DEP_1) | instskip(NEXT) | instid1(VALU_DEP_2)
	v_add_co_ci_u32_e64 v17, s2, s7, v17, s2
	v_add_co_u32 v16, s2, v16, v18
	s_delay_alu instid0(VALU_DEP_1)
	v_add_co_ci_u32_e64 v17, s2, v17, v19, s2
	s_clause 0x3
	global_load_b128 v[38:41], v[16:17], off offset:128
	global_load_b128 v[42:45], v[16:17], off
	global_load_b128 v[46:49], v[16:17], off offset:144
	global_load_b128 v[50:53], v[16:17], off offset:16
	s_waitcnt vmcnt(2)
	v_dual_mul_f32 v17, v38, v1 :: v_dual_mul_f32 v18, v43, v3
	v_dual_mul_f32 v16, v42, v1 :: v_dual_mul_f32 v1, v39, v3
	v_dual_mul_f32 v3, v40, v5 :: v_dual_mul_f32 v22, v45, v7
	v_dual_mul_f32 v20, v44, v5 :: v_dual_mul_f32 v5, v41, v7
	s_waitcnt vmcnt(0)
	v_dual_mul_f32 v7, v46, v9 :: v_dual_mul_f32 v26, v51, v11
	v_dual_mul_f32 v24, v50, v9 :: v_dual_mul_f32 v9, v47, v11
	v_dual_mul_f32 v11, v48, v13 :: v_dual_mul_f32 v30, v53, v15
	v_dual_mul_f32 v28, v52, v13 :: v_dual_mul_f32 v13, v49, v15
	v_fma_f32 v15, v42, v0, -v17
	v_fmac_f32_e32 v16, v38, v0
	v_fma_f32 v17, v43, v2, -v1
	v_fmac_f32_e32 v18, v39, v2
	;; [unrolled: 2-line block ×8, first 2 shown]
	v_mov_b32_e32 v0, v15
	v_dual_mov_b32 v1, v16 :: v_dual_mov_b32 v2, v17
	v_dual_mov_b32 v3, v18 :: v_dual_mov_b32 v4, v19
	;; [unrolled: 1-line block ×7, first 2 shown]
	v_mov_b32_e32 v15, v30
.LBB13_8:
	s_or_b32 exec_lo, exec_lo, s3
	s_mov_b32 s6, 0
                                        ; implicit-def: $vgpr19
                                        ; implicit-def: $vgpr20_vgpr21
	s_and_saveexec_b32 s2, vcc_lo
	s_delay_alu instid0(SALU_CYCLE_1)
	s_xor_b32 s11, exec_lo, s2
	s_cbranch_execnz .LBB13_13
; %bb.9:
	s_and_not1_saveexec_b32 s7, s11
	s_cbranch_execnz .LBB13_308
.LBB13_10:
	s_or_b32 exec_lo, exec_lo, s7
	s_delay_alu instid0(SALU_CYCLE_1)
	s_and_b32 exec_lo, exec_lo, s6
	s_cbranch_execz .LBB13_12
.LBB13_11:
	v_add_co_u32 v0, vcc_lo, v20, v37
	v_add_co_ci_u32_e32 v1, vcc_lo, 0, v21, vcc_lo
	global_store_b128 v[0:1], v[16:19], off
.LBB13_12:
	s_nop 0
	s_sendmsg sendmsg(MSG_DEALLOC_VGPRS)
	s_endpgm
.LBB13_13:
	s_load_b64 s[2:3], s[0:1], 0x30
	s_mov_b32 s8, 0
	s_mov_b32 s12, exec_lo
                                        ; implicit-def: $vgpr19
                                        ; implicit-def: $vgpr20_vgpr21
	s_waitcnt lgkmcnt(0)
	v_add_co_u32 v16, vcc_lo, s2, v35
	v_add_co_ci_u32_e32 v17, vcc_lo, s3, v36, vcc_lo
	global_load_b64 v[16:17], v[16:17], off
	s_waitcnt vmcnt(0)
	v_cmpx_lt_i64_e32 -1, v[16:17]
	s_cbranch_execz .LBB13_307
; %bb.14:
	s_load_b64 s[4:5], s[0:1], 0x48
	s_ashr_i32 s13, s10, 31
	v_mov_b32_e32 v18, 0
	v_or_b32_e32 v19, s13, v17
	s_delay_alu instid0(VALU_DEP_1) | instskip(SKIP_1) | instid1(SALU_CYCLE_1)
	v_cmp_ne_u64_e32 vcc_lo, 0, v[18:19]
                                        ; implicit-def: $vgpr18_vgpr19
	s_and_saveexec_b32 s2, vcc_lo
	s_xor_b32 s3, exec_lo, s2
	s_cbranch_execz .LBB13_16
; %bb.15:
	s_add_u32 s8, s10, s13
	s_mov_b32 s6, s13
	s_mov_b32 s7, s13
	s_addc_u32 s9, s13, s13
	s_delay_alu instid0(SALU_CYCLE_1) | instskip(NEXT) | instid1(SALU_CYCLE_1)
	s_xor_b64 s[8:9], s[8:9], s[6:7]
	v_cvt_f32_u32_e32 v18, s8
	v_cvt_f32_u32_e32 v19, s9
	s_sub_u32 s2, 0, s8
	s_subb_u32 s14, 0, s9
	s_delay_alu instid0(VALU_DEP_1) | instskip(NEXT) | instid1(VALU_DEP_1)
	v_fmamk_f32 v18, v19, 0x4f800000, v18
	v_rcp_f32_e32 v18, v18
	s_waitcnt_depctr 0xfff
	v_mul_f32_e32 v18, 0x5f7ffffc, v18
	s_delay_alu instid0(VALU_DEP_1) | instskip(NEXT) | instid1(VALU_DEP_1)
	v_mul_f32_e32 v19, 0x2f800000, v18
	v_trunc_f32_e32 v19, v19
	s_delay_alu instid0(VALU_DEP_1) | instskip(SKIP_1) | instid1(VALU_DEP_2)
	v_fmamk_f32 v18, v19, 0xcf800000, v18
	v_cvt_u32_f32_e32 v19, v19
	v_cvt_u32_f32_e32 v18, v18
	s_delay_alu instid0(VALU_DEP_2) | instskip(NEXT) | instid1(VALU_DEP_2)
	v_mul_lo_u32 v20, s2, v19
	v_mul_hi_u32 v21, s2, v18
	v_mul_lo_u32 v22, s14, v18
	s_delay_alu instid0(VALU_DEP_2) | instskip(SKIP_1) | instid1(VALU_DEP_2)
	v_add_nc_u32_e32 v20, v21, v20
	v_mul_lo_u32 v21, s2, v18
	v_add_nc_u32_e32 v20, v20, v22
	s_delay_alu instid0(VALU_DEP_2) | instskip(NEXT) | instid1(VALU_DEP_2)
	v_mul_hi_u32 v22, v18, v21
	v_mul_lo_u32 v23, v18, v20
	v_mul_hi_u32 v24, v18, v20
	v_mul_hi_u32 v25, v19, v21
	v_mul_lo_u32 v21, v19, v21
	v_mul_hi_u32 v26, v19, v20
	v_mul_lo_u32 v20, v19, v20
	v_add_co_u32 v22, vcc_lo, v22, v23
	v_add_co_ci_u32_e32 v23, vcc_lo, 0, v24, vcc_lo
	s_delay_alu instid0(VALU_DEP_2) | instskip(NEXT) | instid1(VALU_DEP_2)
	v_add_co_u32 v21, vcc_lo, v22, v21
	v_add_co_ci_u32_e32 v21, vcc_lo, v23, v25, vcc_lo
	v_add_co_ci_u32_e32 v22, vcc_lo, 0, v26, vcc_lo
	v_ashrrev_i32_e32 v25, 31, v17
	s_delay_alu instid0(VALU_DEP_3) | instskip(NEXT) | instid1(VALU_DEP_3)
	v_add_co_u32 v20, vcc_lo, v21, v20
	v_add_co_ci_u32_e32 v21, vcc_lo, 0, v22, vcc_lo
	s_delay_alu instid0(VALU_DEP_2) | instskip(NEXT) | instid1(VALU_DEP_2)
	v_add_co_u32 v18, vcc_lo, v18, v20
	v_add_co_ci_u32_e32 v19, vcc_lo, v19, v21, vcc_lo
	s_delay_alu instid0(VALU_DEP_2) | instskip(SKIP_1) | instid1(VALU_DEP_3)
	v_mul_hi_u32 v20, s2, v18
	v_mul_lo_u32 v22, s14, v18
	v_mul_lo_u32 v21, s2, v19
	s_delay_alu instid0(VALU_DEP_1) | instskip(SKIP_1) | instid1(VALU_DEP_2)
	v_add_nc_u32_e32 v20, v20, v21
	v_mul_lo_u32 v21, s2, v18
	v_add_nc_u32_e32 v20, v20, v22
	s_delay_alu instid0(VALU_DEP_2) | instskip(NEXT) | instid1(VALU_DEP_2)
	v_mul_hi_u32 v22, v18, v21
	v_mul_lo_u32 v23, v18, v20
	v_mul_hi_u32 v24, v18, v20
	v_mul_hi_u32 v26, v19, v21
	v_mul_lo_u32 v21, v19, v21
	v_mul_hi_u32 v27, v19, v20
	v_mul_lo_u32 v20, v19, v20
	v_add_co_u32 v22, vcc_lo, v22, v23
	v_add_co_ci_u32_e32 v23, vcc_lo, 0, v24, vcc_lo
	s_delay_alu instid0(VALU_DEP_2) | instskip(NEXT) | instid1(VALU_DEP_2)
	v_add_co_u32 v21, vcc_lo, v22, v21
	v_add_co_ci_u32_e32 v21, vcc_lo, v23, v26, vcc_lo
	v_add_co_ci_u32_e32 v22, vcc_lo, 0, v27, vcc_lo
	v_add_co_u32 v23, vcc_lo, v16, v25
	v_add_co_ci_u32_e32 v24, vcc_lo, v17, v25, vcc_lo
	s_delay_alu instid0(VALU_DEP_4) | instskip(NEXT) | instid1(VALU_DEP_4)
	v_add_co_u32 v20, vcc_lo, v21, v20
	v_add_co_ci_u32_e32 v21, vcc_lo, 0, v22, vcc_lo
	s_delay_alu instid0(VALU_DEP_4) | instskip(NEXT) | instid1(VALU_DEP_3)
	v_xor_b32_e32 v26, v23, v25
	v_add_co_u32 v22, vcc_lo, v18, v20
	s_delay_alu instid0(VALU_DEP_3) | instskip(SKIP_1) | instid1(VALU_DEP_3)
	v_add_co_ci_u32_e32 v27, vcc_lo, v19, v21, vcc_lo
	v_xor_b32_e32 v24, v24, v25
	v_mul_hi_u32 v28, v26, v22
	s_delay_alu instid0(VALU_DEP_3) | instskip(NEXT) | instid1(VALU_DEP_3)
	v_mad_u64_u32 v[18:19], null, v26, v27, 0
	v_mad_u64_u32 v[20:21], null, v24, v22, 0
	;; [unrolled: 1-line block ×3, first 2 shown]
	s_delay_alu instid0(VALU_DEP_3) | instskip(NEXT) | instid1(VALU_DEP_4)
	v_add_co_u32 v18, vcc_lo, v28, v18
	v_add_co_ci_u32_e32 v19, vcc_lo, 0, v19, vcc_lo
	s_delay_alu instid0(VALU_DEP_2) | instskip(NEXT) | instid1(VALU_DEP_2)
	v_add_co_u32 v18, vcc_lo, v18, v20
	v_add_co_ci_u32_e32 v18, vcc_lo, v19, v21, vcc_lo
	v_add_co_ci_u32_e32 v19, vcc_lo, 0, v23, vcc_lo
	s_delay_alu instid0(VALU_DEP_2) | instskip(NEXT) | instid1(VALU_DEP_2)
	v_add_co_u32 v20, vcc_lo, v18, v22
	v_add_co_ci_u32_e32 v21, vcc_lo, 0, v19, vcc_lo
	s_delay_alu instid0(VALU_DEP_2) | instskip(SKIP_1) | instid1(VALU_DEP_3)
	v_mul_lo_u32 v22, s9, v20
	v_mad_u64_u32 v[18:19], null, s8, v20, 0
	v_mul_lo_u32 v23, s8, v21
	s_delay_alu instid0(VALU_DEP_2) | instskip(NEXT) | instid1(VALU_DEP_2)
	v_sub_co_u32 v18, vcc_lo, v26, v18
	v_add3_u32 v19, v19, v23, v22
	s_delay_alu instid0(VALU_DEP_1) | instskip(NEXT) | instid1(VALU_DEP_1)
	v_sub_nc_u32_e32 v22, v24, v19
	v_subrev_co_ci_u32_e64 v22, s2, s9, v22, vcc_lo
	v_add_co_u32 v23, s2, v20, 2
	s_delay_alu instid0(VALU_DEP_1) | instskip(SKIP_3) | instid1(VALU_DEP_3)
	v_add_co_ci_u32_e64 v26, s2, 0, v21, s2
	v_sub_co_u32 v27, s2, v18, s8
	v_sub_co_ci_u32_e32 v19, vcc_lo, v24, v19, vcc_lo
	v_subrev_co_ci_u32_e64 v22, s2, 0, v22, s2
	v_cmp_le_u32_e32 vcc_lo, s8, v27
	s_delay_alu instid0(VALU_DEP_3) | instskip(SKIP_1) | instid1(VALU_DEP_4)
	v_cmp_eq_u32_e64 s2, s9, v19
	v_cndmask_b32_e64 v24, 0, -1, vcc_lo
	v_cmp_le_u32_e32 vcc_lo, s9, v22
	v_cndmask_b32_e64 v27, 0, -1, vcc_lo
	v_cmp_le_u32_e32 vcc_lo, s8, v18
	;; [unrolled: 2-line block ×3, first 2 shown]
	v_cndmask_b32_e64 v28, 0, -1, vcc_lo
	v_cmp_eq_u32_e32 vcc_lo, s9, v22
	s_delay_alu instid0(VALU_DEP_2) | instskip(SKIP_3) | instid1(VALU_DEP_3)
	v_cndmask_b32_e64 v18, v28, v18, s2
	v_cndmask_b32_e32 v22, v27, v24, vcc_lo
	v_add_co_u32 v24, vcc_lo, v20, 1
	v_add_co_ci_u32_e32 v27, vcc_lo, 0, v21, vcc_lo
	v_cmp_ne_u32_e32 vcc_lo, 0, v22
	s_delay_alu instid0(VALU_DEP_2) | instskip(SKIP_2) | instid1(VALU_DEP_3)
	v_dual_cndmask_b32 v19, v27, v26 :: v_dual_cndmask_b32 v22, v24, v23
	v_cmp_ne_u32_e32 vcc_lo, 0, v18
	v_xor_b32_e32 v18, s6, v25
	v_dual_cndmask_b32 v20, v20, v22 :: v_dual_cndmask_b32 v19, v21, v19
	v_xor_b32_e32 v21, s7, v25
	s_delay_alu instid0(VALU_DEP_2) | instskip(NEXT) | instid1(VALU_DEP_2)
	v_xor_b32_e32 v20, v20, v18
	v_xor_b32_e32 v19, v19, v21
	s_delay_alu instid0(VALU_DEP_2) | instskip(NEXT) | instid1(VALU_DEP_2)
	v_sub_co_u32 v18, vcc_lo, v20, v18
	v_sub_co_ci_u32_e32 v19, vcc_lo, v19, v21, vcc_lo
.LBB13_16:
	s_and_not1_saveexec_b32 s2, s3
	s_cbranch_execz .LBB13_18
; %bb.17:
	v_cvt_f32_u32_e32 v18, s10
	s_sub_i32 s3, 0, s10
	s_delay_alu instid0(VALU_DEP_1) | instskip(SKIP_2) | instid1(VALU_DEP_1)
	v_rcp_iflag_f32_e32 v18, v18
	s_waitcnt_depctr 0xfff
	v_mul_f32_e32 v18, 0x4f7ffffe, v18
	v_cvt_u32_f32_e32 v18, v18
	s_delay_alu instid0(VALU_DEP_1) | instskip(NEXT) | instid1(VALU_DEP_1)
	v_mul_lo_u32 v19, s3, v18
	v_mul_hi_u32 v19, v18, v19
	s_delay_alu instid0(VALU_DEP_1) | instskip(NEXT) | instid1(VALU_DEP_1)
	v_add_nc_u32_e32 v18, v18, v19
	v_mul_hi_u32 v18, v16, v18
	s_delay_alu instid0(VALU_DEP_1) | instskip(SKIP_1) | instid1(VALU_DEP_2)
	v_mul_lo_u32 v19, v18, s10
	v_add_nc_u32_e32 v20, 1, v18
	v_sub_nc_u32_e32 v19, v16, v19
	s_delay_alu instid0(VALU_DEP_1) | instskip(SKIP_1) | instid1(VALU_DEP_2)
	v_subrev_nc_u32_e32 v21, s10, v19
	v_cmp_le_u32_e32 vcc_lo, s10, v19
	v_dual_cndmask_b32 v19, v19, v21 :: v_dual_cndmask_b32 v18, v18, v20
	s_delay_alu instid0(VALU_DEP_1) | instskip(NEXT) | instid1(VALU_DEP_2)
	v_cmp_le_u32_e32 vcc_lo, s10, v19
	v_dual_mov_b32 v19, 0 :: v_dual_add_nc_u32 v20, 1, v18
	s_delay_alu instid0(VALU_DEP_1)
	v_cndmask_b32_e32 v18, v18, v20, vcc_lo
.LBB13_18:
	s_or_b32 exec_lo, exec_lo, s2
	s_waitcnt lgkmcnt(0)
	s_load_b32 s2, s[4:5], 0x0
	s_waitcnt lgkmcnt(0)
	v_div_scale_f32 v20, null, s2, s2, 1.0
	s_delay_alu instid0(VALU_DEP_1) | instskip(SKIP_2) | instid1(VALU_DEP_1)
	v_rcp_f32_e32 v21, v20
	s_waitcnt_depctr 0xfff
	v_fma_f32 v22, -v20, v21, 1.0
	v_fmac_f32_e32 v21, v22, v21
	v_div_scale_f32 v22, vcc_lo, 1.0, s2, 1.0
	s_delay_alu instid0(VALU_DEP_1) | instskip(NEXT) | instid1(VALU_DEP_1)
	v_mul_f32_e32 v23, v22, v21
	v_fma_f32 v24, -v20, v23, v22
	s_delay_alu instid0(VALU_DEP_1) | instskip(NEXT) | instid1(VALU_DEP_1)
	v_fmac_f32_e32 v23, v24, v21
	v_fma_f32 v20, -v20, v23, v22
	s_delay_alu instid0(VALU_DEP_1) | instskip(NEXT) | instid1(VALU_DEP_1)
	v_div_fmas_f32 v20, v20, v21, v23
	v_div_fixup_f32 v24, v20, s2, 1.0
	s_mov_b32 s2, 0xc3e00000
	s_delay_alu instid0(VALU_DEP_1) | instskip(NEXT) | instid1(VALU_DEP_1)
	v_mul_f32_e32 v0, v0, v24
	v_maxmin_f32 v23, v0, s2, 0x43e00000
	v_mov_b32_e32 v21, 0
	s_mov_b32 s2, exec_lo
	s_delay_alu instid0(VALU_DEP_2) | instskip(SKIP_1) | instid1(VALU_DEP_3)
	v_and_b32_e32 v26, 0x7f800000, v23
	v_lshrrev_b32_e32 v25, 24, v23
	v_dual_mov_b32 v27, v21 :: v_dual_and_b32 v20, 0x7fffff, v23
	s_delay_alu instid0(VALU_DEP_2) | instskip(NEXT) | instid1(VALU_DEP_1)
	v_and_b32_e32 v0, 0x80, v25
	v_or_b32_e32 v22, 0x7e, v0
	s_delay_alu instid0(VALU_DEP_3)
	v_cmpx_ne_u64_e32 0x7f800000, v[26:27]
	s_xor_b32 s3, exec_lo, s2
	s_cbranch_execz .LBB13_34
; %bb.19:
	v_dual_mov_b32 v26, v21 :: v_dual_and_b32 v25, 0x7fffffff, v23
	s_mov_b32 s2, exec_lo
	s_delay_alu instid0(VALU_DEP_1)
	v_cmpx_gt_u64_e32 0x43e00001, v[25:26]
	s_xor_b32 s4, exec_lo, s2
	s_cbranch_execz .LBB13_33
; %bb.20:
	v_mov_b32_e32 v22, 0
	s_mov_b32 s5, exec_lo
	v_cmpx_ne_u32_e32 0, v23
	s_cbranch_execz .LBB13_32
; %bb.21:
	v_bfe_u32 v25, v23, 23, 8
	v_or_b32_e32 v27, 0x800000, v20
	s_delay_alu instid0(VALU_DEP_2) | instskip(SKIP_1) | instid1(VALU_DEP_2)
	v_sub_nc_u32_e32 v22, 0x79, v25
	v_cmp_gt_u32_e32 vcc_lo, 0x7a, v25
	v_cndmask_b32_e32 v22, 0, v22, vcc_lo
	v_cmp_eq_u32_e32 vcc_lo, 0, v25
	s_delay_alu instid0(VALU_DEP_2) | instskip(NEXT) | instid1(VALU_DEP_1)
	v_cndmask_b32_e64 v26, v22, 0x78, vcc_lo
	v_dual_cndmask_b32 v20, v27, v20 :: v_dual_add_nc_u32 v27, 19, v26
	v_add_nc_u32_e32 v22, 20, v26
	s_delay_alu instid0(VALU_DEP_1) | instskip(NEXT) | instid1(VALU_DEP_1)
	v_lshlrev_b64 v[22:23], v22, -1
	v_not_b32_e32 v29, v22
	s_delay_alu instid0(VALU_DEP_2) | instskip(SKIP_1) | instid1(VALU_DEP_3)
	v_not_b32_e32 v28, v23
	v_lshlrev_b64 v[22:23], v27, 1
	v_and_b32_e32 v27, v20, v29
	v_lshrrev_b64 v[20:21], v26, v[20:21]
	s_delay_alu instid0(VALU_DEP_4) | instskip(NEXT) | instid1(VALU_DEP_1)
	v_and_b32_e32 v28, 0, v28
	v_cmp_eq_u64_e64 s2, v[27:28], v[22:23]
	s_delay_alu instid0(VALU_DEP_3) | instskip(NEXT) | instid1(VALU_DEP_2)
	v_dual_mov_b32 v23, v21 :: v_dual_mov_b32 v22, v20
	s_and_saveexec_b32 s6, s2
; %bb.22:
	v_bfe_u32 v22, v20, 20, 1
	s_delay_alu instid0(VALU_DEP_1) | instskip(NEXT) | instid1(VALU_DEP_1)
	v_add_co_u32 v22, s2, v20, v22
	v_add_co_u32 v22, s2, v22, -1
; %bb.23:
	s_or_b32 exec_lo, exec_lo, s6
	v_add_nc_u32_e32 v23, 0xffffff81, v25
	v_lshrrev_b32_e32 v25, 23, v20
	s_mov_b32 s2, exec_lo
	s_delay_alu instid0(VALU_DEP_2) | instskip(NEXT) | instid1(VALU_DEP_1)
	v_cndmask_b32_e64 v23, v23, 0xffffff82, vcc_lo
	v_add3_u32 v25, v26, v23, v25
	v_and_b32_e32 v23, 0xfffff, v22
	s_delay_alu instid0(VALU_DEP_2) | instskip(NEXT) | instid1(VALU_DEP_2)
	v_add_nc_u32_e32 v22, 6, v25
	v_add_co_u32 v20, vcc_lo, v23, v20
	v_add_co_ci_u32_e32 v21, vcc_lo, 0, v21, vcc_lo
                                        ; implicit-def: $vgpr23
	s_delay_alu instid0(VALU_DEP_3)
	v_cmpx_ne_u32_e32 0, v22
	s_xor_b32 s2, exec_lo, s2
; %bb.24:
	s_delay_alu instid0(VALU_DEP_2) | instskip(SKIP_1) | instid1(VALU_DEP_1)
	v_cmp_lt_u64_e32 vcc_lo, 0xffffff, v[20:21]
	v_add_nc_u32_e32 v23, 7, v25
	v_cndmask_b32_e32 v23, v22, v23, vcc_lo
	v_cndmask_b32_e64 v22, 0, 1, vcc_lo
	s_delay_alu instid0(VALU_DEP_1)
	v_lshrrev_b64 v[20:21], v22, v[20:21]
; %bb.25:
	s_and_not1_saveexec_b32 s2, s2
; %bb.26:
	s_delay_alu instid0(VALU_DEP_1)
	v_bfe_u32 v23, v20, 23, 1
; %bb.27:
	s_or_b32 exec_lo, exec_lo, s2
	s_delay_alu instid0(VALU_DEP_2) | instskip(NEXT) | instid1(VALU_DEP_2)
	v_lshrrev_b64 v[20:21], 20, v[20:21]
	v_cmp_gt_i32_e32 vcc_lo, 16, v23
	v_cmp_ne_u32_e64 s2, 0, v23
                                        ; implicit-def: $vgpr22
	s_delay_alu instid0(VALU_DEP_3) | instskip(NEXT) | instid1(VALU_DEP_1)
	v_dual_cndmask_b32 v21, 0, v21 :: v_dual_cndmask_b32 v20, 7, v20
	v_cmp_ne_u64_e32 vcc_lo, 0, v[20:21]
	s_delay_alu instid0(VALU_DEP_3) | instskip(NEXT) | instid1(SALU_CYCLE_1)
	s_or_b32 s2, s2, vcc_lo
	s_and_saveexec_b32 s6, s2
	s_delay_alu instid0(SALU_CYCLE_1)
	s_xor_b32 s2, exec_lo, s6
; %bb.28:
	v_min_i32_e32 v21, 15, v23
	s_delay_alu instid0(VALU_DEP_1) | instskip(NEXT) | instid1(VALU_DEP_1)
	v_lshl_or_b32 v0, v21, 3, v0
	v_and_or_b32 v22, v20, 7, v0
                                        ; implicit-def: $vgpr0
; %bb.29:
	s_and_not1_saveexec_b32 s2, s2
; %bb.30:
	v_mov_b32_e32 v22, v0
; %bb.31:
	s_or_b32 exec_lo, exec_lo, s2
.LBB13_32:
	s_delay_alu instid0(SALU_CYCLE_1)
	s_or_b32 exec_lo, exec_lo, s5
.LBB13_33:
	s_and_not1_saveexec_b32 s2, s4
	s_delay_alu instid0(SALU_CYCLE_1)
	s_or_b32 exec_lo, exec_lo, s2
                                        ; implicit-def: $vgpr25
                                        ; implicit-def: $vgpr20_vgpr21
.LBB13_34:
	s_and_not1_saveexec_b32 s2, s3
; %bb.35:
	v_cmp_eq_u64_e32 vcc_lo, 0, v[20:21]
	v_or_b32_e32 v0, 0x7f, v25
	s_delay_alu instid0(VALU_DEP_1)
	v_cndmask_b32_e32 v22, v0, v22, vcc_lo
; %bb.36:
	s_or_b32 exec_lo, exec_lo, s2
	v_dual_mul_f32 v0, v1, v24 :: v_dual_mov_b32 v1, 0
	s_mov_b32 s2, 0xc3e00000
	s_delay_alu instid0(VALU_DEP_1) | instid1(SALU_CYCLE_1)
	v_maxmin_f32 v20, v0, s2, 0x43e00000
	s_mov_b32 s2, exec_lo
	s_delay_alu instid0(VALU_DEP_2) | instskip(NEXT) | instid1(VALU_DEP_2)
	v_mov_b32_e32 v27, v1
	v_lshrrev_b32_e32 v21, 24, v20
	v_and_b32_e32 v26, 0x7f800000, v20
	v_and_b32_e32 v0, 0x7fffff, v20
	s_delay_alu instid0(VALU_DEP_3) | instskip(NEXT) | instid1(VALU_DEP_1)
	v_and_b32_e32 v25, 0x80, v21
	v_or_b32_e32 v23, 0x7e, v25
	s_delay_alu instid0(VALU_DEP_4)
	v_cmpx_ne_u64_e32 0x7f800000, v[26:27]
	s_xor_b32 s3, exec_lo, s2
	s_cbranch_execz .LBB13_52
; %bb.37:
	v_dual_mov_b32 v27, v1 :: v_dual_and_b32 v26, 0x7fffffff, v20
	s_mov_b32 s2, exec_lo
	s_delay_alu instid0(VALU_DEP_1)
	v_cmpx_gt_u64_e32 0x43e00001, v[26:27]
	s_xor_b32 s4, exec_lo, s2
	s_cbranch_execz .LBB13_51
; %bb.38:
	v_mov_b32_e32 v23, 0
	s_mov_b32 s5, exec_lo
	v_cmpx_ne_u32_e32 0, v20
	s_cbranch_execz .LBB13_50
; %bb.39:
	v_bfe_u32 v23, v20, 23, 8
	v_or_b32_e32 v27, 0x800000, v0
	s_delay_alu instid0(VALU_DEP_2) | instskip(SKIP_1) | instid1(VALU_DEP_2)
	v_sub_nc_u32_e32 v20, 0x79, v23
	v_cmp_gt_u32_e32 vcc_lo, 0x7a, v23
	v_cndmask_b32_e32 v20, 0, v20, vcc_lo
	v_cmp_eq_u32_e32 vcc_lo, 0, v23
	s_delay_alu instid0(VALU_DEP_2) | instskip(NEXT) | instid1(VALU_DEP_1)
	v_cndmask_b32_e64 v26, v20, 0x78, vcc_lo
	v_dual_cndmask_b32 v0, v27, v0 :: v_dual_add_nc_u32 v27, 19, v26
	v_add_nc_u32_e32 v20, 20, v26
	s_delay_alu instid0(VALU_DEP_1) | instskip(NEXT) | instid1(VALU_DEP_1)
	v_lshlrev_b64 v[20:21], v20, -1
	v_not_b32_e32 v29, v20
	s_delay_alu instid0(VALU_DEP_2) | instskip(SKIP_1) | instid1(VALU_DEP_3)
	v_not_b32_e32 v28, v21
	v_lshlrev_b64 v[20:21], v27, 1
	v_and_b32_e32 v27, v0, v29
	v_lshrrev_b64 v[0:1], v26, v[0:1]
	s_delay_alu instid0(VALU_DEP_4) | instskip(NEXT) | instid1(VALU_DEP_1)
	v_and_b32_e32 v28, 0, v28
	v_cmp_eq_u64_e64 s2, v[27:28], v[20:21]
	s_delay_alu instid0(VALU_DEP_3) | instskip(NEXT) | instid1(VALU_DEP_2)
	v_dual_mov_b32 v21, v1 :: v_dual_mov_b32 v20, v0
	s_and_saveexec_b32 s6, s2
; %bb.40:
	v_bfe_u32 v20, v0, 20, 1
	s_delay_alu instid0(VALU_DEP_1) | instskip(NEXT) | instid1(VALU_DEP_1)
	v_add_co_u32 v20, s2, v0, v20
	v_add_co_u32 v20, s2, v20, -1
; %bb.41:
	s_or_b32 exec_lo, exec_lo, s6
	v_add_nc_u32_e32 v21, 0xffffff81, v23
	v_lshrrev_b32_e32 v23, 23, v0
	s_delay_alu instid0(VALU_DEP_3) | instskip(SKIP_1) | instid1(VALU_DEP_3)
	v_and_b32_e32 v20, 0xfffff, v20
	s_mov_b32 s2, exec_lo
	v_cndmask_b32_e64 v21, v21, 0xffffff82, vcc_lo
	s_delay_alu instid0(VALU_DEP_2) | instskip(SKIP_1) | instid1(VALU_DEP_3)
	v_add_co_u32 v0, vcc_lo, v20, v0
	v_add_co_ci_u32_e32 v1, vcc_lo, 0, v1, vcc_lo
	v_add3_u32 v21, v26, v21, v23
                                        ; implicit-def: $vgpr20
	s_delay_alu instid0(VALU_DEP_1) | instskip(NEXT) | instid1(VALU_DEP_1)
	v_add_nc_u32_e32 v23, 6, v21
	v_cmpx_ne_u32_e32 0, v23
	s_xor_b32 s2, exec_lo, s2
; %bb.42:
	v_cmp_lt_u64_e32 vcc_lo, 0xffffff, v[0:1]
	v_add_nc_u32_e32 v20, 7, v21
	v_cndmask_b32_e64 v21, 0, 1, vcc_lo
	s_delay_alu instid0(VALU_DEP_2) | instskip(NEXT) | instid1(VALU_DEP_2)
	v_cndmask_b32_e32 v20, v23, v20, vcc_lo
	v_lshrrev_b64 v[0:1], v21, v[0:1]
; %bb.43:
	s_and_not1_saveexec_b32 s2, s2
; %bb.44:
	s_delay_alu instid0(VALU_DEP_1)
	v_bfe_u32 v20, v0, 23, 1
; %bb.45:
	s_or_b32 exec_lo, exec_lo, s2
	s_delay_alu instid0(VALU_DEP_2) | instskip(NEXT) | instid1(VALU_DEP_2)
	v_lshrrev_b64 v[0:1], 20, v[0:1]
	v_cmp_gt_i32_e32 vcc_lo, 16, v20
	v_cmp_ne_u32_e64 s2, 0, v20
                                        ; implicit-def: $vgpr23
	s_delay_alu instid0(VALU_DEP_3) | instskip(NEXT) | instid1(VALU_DEP_1)
	v_dual_cndmask_b32 v1, 0, v1 :: v_dual_cndmask_b32 v0, 7, v0
	v_cmp_ne_u64_e32 vcc_lo, 0, v[0:1]
	s_delay_alu instid0(VALU_DEP_3) | instskip(NEXT) | instid1(SALU_CYCLE_1)
	s_or_b32 s2, s2, vcc_lo
	s_and_saveexec_b32 s6, s2
	s_delay_alu instid0(SALU_CYCLE_1)
	s_xor_b32 s2, exec_lo, s6
; %bb.46:
	v_min_i32_e32 v1, 15, v20
	s_delay_alu instid0(VALU_DEP_1) | instskip(NEXT) | instid1(VALU_DEP_1)
	v_lshl_or_b32 v1, v1, 3, v25
                                        ; implicit-def: $vgpr25
	v_and_or_b32 v23, v0, 7, v1
; %bb.47:
	s_and_not1_saveexec_b32 s2, s2
; %bb.48:
	v_mov_b32_e32 v23, v25
; %bb.49:
	s_or_b32 exec_lo, exec_lo, s2
.LBB13_50:
	s_delay_alu instid0(SALU_CYCLE_1)
	s_or_b32 exec_lo, exec_lo, s5
.LBB13_51:
	s_and_not1_saveexec_b32 s2, s4
	s_delay_alu instid0(SALU_CYCLE_1)
	s_or_b32 exec_lo, exec_lo, s2
                                        ; implicit-def: $vgpr21
                                        ; implicit-def: $vgpr0_vgpr1
.LBB13_52:
	s_and_not1_saveexec_b32 s2, s3
; %bb.53:
	v_cmp_eq_u64_e32 vcc_lo, 0, v[0:1]
	v_or_b32_e32 v20, 0x7f, v21
	s_delay_alu instid0(VALU_DEP_1)
	v_cndmask_b32_e32 v23, v20, v23, vcc_lo
; %bb.54:
	s_or_b32 exec_lo, exec_lo, s2
	v_dual_mul_f32 v0, v2, v24 :: v_dual_mov_b32 v1, 0
	s_mov_b32 s2, 0xc3e00000
	s_delay_alu instid0(VALU_DEP_1) | instid1(SALU_CYCLE_1)
	v_maxmin_f32 v21, v0, s2, 0x43e00000
	s_mov_b32 s2, exec_lo
	s_delay_alu instid0(VALU_DEP_2) | instskip(NEXT) | instid1(VALU_DEP_2)
	v_mov_b32_e32 v27, v1
	v_lshrrev_b32_e32 v25, 24, v21
	v_and_b32_e32 v26, 0x7f800000, v21
	v_and_b32_e32 v0, 0x7fffff, v21
	s_delay_alu instid0(VALU_DEP_3) | instskip(NEXT) | instid1(VALU_DEP_1)
	v_and_b32_e32 v2, 0x80, v25
	v_or_b32_e32 v20, 0x7e, v2
	s_delay_alu instid0(VALU_DEP_4)
	v_cmpx_ne_u64_e32 0x7f800000, v[26:27]
	s_xor_b32 s3, exec_lo, s2
	s_cbranch_execz .LBB13_70
; %bb.55:
	v_dual_mov_b32 v26, v1 :: v_dual_and_b32 v25, 0x7fffffff, v21
	s_mov_b32 s2, exec_lo
	s_delay_alu instid0(VALU_DEP_1)
	v_cmpx_gt_u64_e32 0x43e00001, v[25:26]
	s_xor_b32 s4, exec_lo, s2
	s_cbranch_execz .LBB13_69
; %bb.56:
	v_mov_b32_e32 v20, 0
	s_mov_b32 s5, exec_lo
	v_cmpx_ne_u32_e32 0, v21
	s_cbranch_execz .LBB13_68
; %bb.57:
	v_bfe_u32 v25, v21, 23, 8
	v_or_b32_e32 v27, 0x800000, v0
	s_delay_alu instid0(VALU_DEP_2) | instskip(SKIP_1) | instid1(VALU_DEP_2)
	v_sub_nc_u32_e32 v20, 0x79, v25
	v_cmp_gt_u32_e32 vcc_lo, 0x7a, v25
	v_cndmask_b32_e32 v20, 0, v20, vcc_lo
	v_cmp_eq_u32_e32 vcc_lo, 0, v25
	s_delay_alu instid0(VALU_DEP_2) | instskip(NEXT) | instid1(VALU_DEP_1)
	v_cndmask_b32_e64 v26, v20, 0x78, vcc_lo
	v_dual_cndmask_b32 v0, v27, v0 :: v_dual_add_nc_u32 v27, 19, v26
	v_add_nc_u32_e32 v20, 20, v26
	s_delay_alu instid0(VALU_DEP_1) | instskip(NEXT) | instid1(VALU_DEP_1)
	v_lshlrev_b64 v[20:21], v20, -1
	v_not_b32_e32 v29, v20
	s_delay_alu instid0(VALU_DEP_2) | instskip(SKIP_1) | instid1(VALU_DEP_3)
	v_not_b32_e32 v28, v21
	v_lshlrev_b64 v[20:21], v27, 1
	v_and_b32_e32 v27, v0, v29
	v_lshrrev_b64 v[0:1], v26, v[0:1]
	s_delay_alu instid0(VALU_DEP_4) | instskip(NEXT) | instid1(VALU_DEP_1)
	v_and_b32_e32 v28, 0, v28
	v_cmp_eq_u64_e64 s2, v[27:28], v[20:21]
	s_delay_alu instid0(VALU_DEP_3) | instskip(NEXT) | instid1(VALU_DEP_2)
	v_dual_mov_b32 v21, v1 :: v_dual_mov_b32 v20, v0
	s_and_saveexec_b32 s6, s2
; %bb.58:
	v_bfe_u32 v20, v0, 20, 1
	s_delay_alu instid0(VALU_DEP_1) | instskip(NEXT) | instid1(VALU_DEP_1)
	v_add_co_u32 v20, s2, v0, v20
	v_add_co_u32 v20, s2, v20, -1
; %bb.59:
	s_or_b32 exec_lo, exec_lo, s6
	v_add_nc_u32_e32 v21, 0xffffff81, v25
	v_lshrrev_b32_e32 v25, 23, v0
	s_mov_b32 s2, exec_lo
	s_delay_alu instid0(VALU_DEP_2) | instskip(NEXT) | instid1(VALU_DEP_1)
	v_cndmask_b32_e64 v21, v21, 0xffffff82, vcc_lo
	v_add3_u32 v25, v26, v21, v25
	v_and_b32_e32 v21, 0xfffff, v20
	s_delay_alu instid0(VALU_DEP_2) | instskip(NEXT) | instid1(VALU_DEP_2)
	v_add_nc_u32_e32 v20, 6, v25
	v_add_co_u32 v0, vcc_lo, v21, v0
	v_add_co_ci_u32_e32 v1, vcc_lo, 0, v1, vcc_lo
                                        ; implicit-def: $vgpr21
	s_delay_alu instid0(VALU_DEP_3)
	v_cmpx_ne_u32_e32 0, v20
	s_xor_b32 s2, exec_lo, s2
; %bb.60:
	s_delay_alu instid0(VALU_DEP_2) | instskip(SKIP_1) | instid1(VALU_DEP_1)
	v_cmp_lt_u64_e32 vcc_lo, 0xffffff, v[0:1]
	v_add_nc_u32_e32 v21, 7, v25
	v_cndmask_b32_e32 v21, v20, v21, vcc_lo
	v_cndmask_b32_e64 v20, 0, 1, vcc_lo
	s_delay_alu instid0(VALU_DEP_1)
	v_lshrrev_b64 v[0:1], v20, v[0:1]
; %bb.61:
	s_and_not1_saveexec_b32 s2, s2
; %bb.62:
	s_delay_alu instid0(VALU_DEP_1)
	v_bfe_u32 v21, v0, 23, 1
; %bb.63:
	s_or_b32 exec_lo, exec_lo, s2
	s_delay_alu instid0(VALU_DEP_2) | instskip(NEXT) | instid1(VALU_DEP_2)
	v_lshrrev_b64 v[0:1], 20, v[0:1]
	v_cmp_gt_i32_e32 vcc_lo, 16, v21
	v_cmp_ne_u32_e64 s2, 0, v21
                                        ; implicit-def: $vgpr20
	s_delay_alu instid0(VALU_DEP_3) | instskip(NEXT) | instid1(VALU_DEP_1)
	v_dual_cndmask_b32 v1, 0, v1 :: v_dual_cndmask_b32 v0, 7, v0
	v_cmp_ne_u64_e32 vcc_lo, 0, v[0:1]
	s_delay_alu instid0(VALU_DEP_3) | instskip(NEXT) | instid1(SALU_CYCLE_1)
	s_or_b32 s2, s2, vcc_lo
	s_and_saveexec_b32 s6, s2
	s_delay_alu instid0(SALU_CYCLE_1)
	s_xor_b32 s2, exec_lo, s6
; %bb.64:
	v_min_i32_e32 v1, 15, v21
	s_delay_alu instid0(VALU_DEP_1) | instskip(NEXT) | instid1(VALU_DEP_1)
	v_lshl_or_b32 v1, v1, 3, v2
                                        ; implicit-def: $vgpr2
	v_and_or_b32 v20, v0, 7, v1
; %bb.65:
	s_and_not1_saveexec_b32 s2, s2
; %bb.66:
	v_mov_b32_e32 v20, v2
; %bb.67:
	s_or_b32 exec_lo, exec_lo, s2
.LBB13_68:
	s_delay_alu instid0(SALU_CYCLE_1)
	s_or_b32 exec_lo, exec_lo, s5
.LBB13_69:
	s_and_not1_saveexec_b32 s2, s4
	s_delay_alu instid0(SALU_CYCLE_1)
	s_or_b32 exec_lo, exec_lo, s2
                                        ; implicit-def: $vgpr25
                                        ; implicit-def: $vgpr0_vgpr1
.LBB13_70:
	s_and_not1_saveexec_b32 s2, s3
; %bb.71:
	v_cmp_eq_u64_e32 vcc_lo, 0, v[0:1]
	v_or_b32_e32 v2, 0x7f, v25
	s_delay_alu instid0(VALU_DEP_1)
	v_cndmask_b32_e32 v20, v2, v20, vcc_lo
; %bb.72:
	s_or_b32 exec_lo, exec_lo, s2
	v_dual_mul_f32 v0, v3, v24 :: v_dual_mov_b32 v1, 0
	s_mov_b32 s2, 0xc3e00000
	s_delay_alu instid0(VALU_DEP_1) | instid1(SALU_CYCLE_1)
	v_maxmin_f32 v2, v0, s2, 0x43e00000
	s_mov_b32 s2, exec_lo
	s_delay_alu instid0(VALU_DEP_2) | instskip(NEXT) | instid1(VALU_DEP_2)
	v_mov_b32_e32 v27, v1
	v_lshrrev_b32_e32 v3, 24, v2
	v_and_b32_e32 v26, 0x7f800000, v2
	v_and_b32_e32 v0, 0x7fffff, v2
	s_delay_alu instid0(VALU_DEP_3) | instskip(NEXT) | instid1(VALU_DEP_1)
	v_and_b32_e32 v25, 0x80, v3
	v_or_b32_e32 v21, 0x7e, v25
	s_delay_alu instid0(VALU_DEP_4)
	v_cmpx_ne_u64_e32 0x7f800000, v[26:27]
	s_xor_b32 s3, exec_lo, s2
	s_cbranch_execz .LBB13_88
; %bb.73:
	v_dual_mov_b32 v27, v1 :: v_dual_and_b32 v26, 0x7fffffff, v2
	s_mov_b32 s2, exec_lo
	s_delay_alu instid0(VALU_DEP_1)
	v_cmpx_gt_u64_e32 0x43e00001, v[26:27]
	s_xor_b32 s4, exec_lo, s2
	s_cbranch_execz .LBB13_87
; %bb.74:
	v_mov_b32_e32 v21, 0
	s_mov_b32 s5, exec_lo
	v_cmpx_ne_u32_e32 0, v2
	s_cbranch_execz .LBB13_86
; %bb.75:
	v_bfe_u32 v21, v2, 23, 8
	v_or_b32_e32 v27, 0x800000, v0
	s_delay_alu instid0(VALU_DEP_2) | instskip(SKIP_1) | instid1(VALU_DEP_2)
	v_sub_nc_u32_e32 v2, 0x79, v21
	v_cmp_gt_u32_e32 vcc_lo, 0x7a, v21
	v_cndmask_b32_e32 v2, 0, v2, vcc_lo
	v_cmp_eq_u32_e32 vcc_lo, 0, v21
	s_delay_alu instid0(VALU_DEP_2) | instskip(NEXT) | instid1(VALU_DEP_1)
	v_cndmask_b32_e64 v26, v2, 0x78, vcc_lo
	v_dual_cndmask_b32 v0, v27, v0 :: v_dual_add_nc_u32 v27, 19, v26
	v_add_nc_u32_e32 v2, 20, v26
	s_delay_alu instid0(VALU_DEP_1) | instskip(NEXT) | instid1(VALU_DEP_1)
	v_lshlrev_b64 v[2:3], v2, -1
	v_not_b32_e32 v29, v2
	s_delay_alu instid0(VALU_DEP_2) | instskip(SKIP_1) | instid1(VALU_DEP_3)
	v_not_b32_e32 v28, v3
	v_lshlrev_b64 v[2:3], v27, 1
	v_and_b32_e32 v27, v0, v29
	v_lshrrev_b64 v[0:1], v26, v[0:1]
	s_delay_alu instid0(VALU_DEP_4) | instskip(NEXT) | instid1(VALU_DEP_1)
	v_and_b32_e32 v28, 0, v28
	v_cmp_eq_u64_e64 s2, v[27:28], v[2:3]
	s_delay_alu instid0(VALU_DEP_3) | instskip(NEXT) | instid1(VALU_DEP_2)
	v_dual_mov_b32 v3, v1 :: v_dual_mov_b32 v2, v0
	s_and_saveexec_b32 s6, s2
; %bb.76:
	v_bfe_u32 v2, v0, 20, 1
	s_delay_alu instid0(VALU_DEP_1) | instskip(NEXT) | instid1(VALU_DEP_1)
	v_add_co_u32 v2, s2, v0, v2
	v_add_co_u32 v2, s2, v2, -1
; %bb.77:
	s_or_b32 exec_lo, exec_lo, s6
	v_add_nc_u32_e32 v3, 0xffffff81, v21
	v_lshrrev_b32_e32 v21, 23, v0
	s_delay_alu instid0(VALU_DEP_3) | instskip(SKIP_1) | instid1(VALU_DEP_3)
	v_and_b32_e32 v2, 0xfffff, v2
	s_mov_b32 s2, exec_lo
	v_cndmask_b32_e64 v3, v3, 0xffffff82, vcc_lo
	s_delay_alu instid0(VALU_DEP_2) | instskip(SKIP_1) | instid1(VALU_DEP_3)
	v_add_co_u32 v0, vcc_lo, v2, v0
	v_add_co_ci_u32_e32 v1, vcc_lo, 0, v1, vcc_lo
	v_add3_u32 v3, v26, v3, v21
                                        ; implicit-def: $vgpr2
	s_delay_alu instid0(VALU_DEP_1) | instskip(NEXT) | instid1(VALU_DEP_1)
	v_add_nc_u32_e32 v21, 6, v3
	v_cmpx_ne_u32_e32 0, v21
	s_xor_b32 s2, exec_lo, s2
; %bb.78:
	v_cmp_lt_u64_e32 vcc_lo, 0xffffff, v[0:1]
	v_add_nc_u32_e32 v2, 7, v3
	v_cndmask_b32_e64 v3, 0, 1, vcc_lo
	s_delay_alu instid0(VALU_DEP_2) | instskip(NEXT) | instid1(VALU_DEP_2)
	v_cndmask_b32_e32 v2, v21, v2, vcc_lo
	v_lshrrev_b64 v[0:1], v3, v[0:1]
; %bb.79:
	s_and_not1_saveexec_b32 s2, s2
; %bb.80:
	s_delay_alu instid0(VALU_DEP_1)
	v_bfe_u32 v2, v0, 23, 1
; %bb.81:
	s_or_b32 exec_lo, exec_lo, s2
	s_delay_alu instid0(VALU_DEP_2) | instskip(NEXT) | instid1(VALU_DEP_2)
	v_lshrrev_b64 v[0:1], 20, v[0:1]
	v_cmp_gt_i32_e32 vcc_lo, 16, v2
	v_cmp_ne_u32_e64 s2, 0, v2
                                        ; implicit-def: $vgpr21
	s_delay_alu instid0(VALU_DEP_3) | instskip(NEXT) | instid1(VALU_DEP_1)
	v_dual_cndmask_b32 v1, 0, v1 :: v_dual_cndmask_b32 v0, 7, v0
	v_cmp_ne_u64_e32 vcc_lo, 0, v[0:1]
	s_delay_alu instid0(VALU_DEP_3) | instskip(NEXT) | instid1(SALU_CYCLE_1)
	s_or_b32 s2, s2, vcc_lo
	s_and_saveexec_b32 s6, s2
	s_delay_alu instid0(SALU_CYCLE_1)
	s_xor_b32 s2, exec_lo, s6
; %bb.82:
	v_min_i32_e32 v1, 15, v2
	s_delay_alu instid0(VALU_DEP_1) | instskip(NEXT) | instid1(VALU_DEP_1)
	v_lshl_or_b32 v1, v1, 3, v25
                                        ; implicit-def: $vgpr25
	v_and_or_b32 v21, v0, 7, v1
; %bb.83:
	s_and_not1_saveexec_b32 s2, s2
; %bb.84:
	v_mov_b32_e32 v21, v25
; %bb.85:
	s_or_b32 exec_lo, exec_lo, s2
.LBB13_86:
	s_delay_alu instid0(SALU_CYCLE_1)
	s_or_b32 exec_lo, exec_lo, s5
.LBB13_87:
	s_and_not1_saveexec_b32 s2, s4
	s_delay_alu instid0(SALU_CYCLE_1)
	s_or_b32 exec_lo, exec_lo, s2
                                        ; implicit-def: $vgpr3
                                        ; implicit-def: $vgpr0_vgpr1
.LBB13_88:
	s_and_not1_saveexec_b32 s2, s3
; %bb.89:
	v_cmp_eq_u64_e32 vcc_lo, 0, v[0:1]
	v_or_b32_e32 v2, 0x7f, v3
	s_delay_alu instid0(VALU_DEP_1)
	v_cndmask_b32_e32 v21, v2, v21, vcc_lo
; %bb.90:
	s_or_b32 exec_lo, exec_lo, s2
	v_dual_mul_f32 v0, v4, v24 :: v_dual_mov_b32 v1, 0
	s_mov_b32 s2, 0xc3e00000
	s_delay_alu instid0(VALU_DEP_1) | instid1(SALU_CYCLE_1)
	v_maxmin_f32 v2, v0, s2, 0x43e00000
	s_mov_b32 s2, exec_lo
	s_delay_alu instid0(VALU_DEP_2) | instskip(NEXT) | instid1(VALU_DEP_2)
	v_mov_b32_e32 v27, v1
	v_lshrrev_b32_e32 v3, 24, v2
	v_and_b32_e32 v26, 0x7f800000, v2
	v_and_b32_e32 v0, 0x7fffff, v2
	s_delay_alu instid0(VALU_DEP_3) | instskip(NEXT) | instid1(VALU_DEP_1)
	v_and_b32_e32 v25, 0x80, v3
	v_or_b32_e32 v4, 0x7e, v25
	s_delay_alu instid0(VALU_DEP_4)
	v_cmpx_ne_u64_e32 0x7f800000, v[26:27]
	s_xor_b32 s3, exec_lo, s2
	s_cbranch_execz .LBB13_106
; %bb.91:
	v_dual_mov_b32 v27, v1 :: v_dual_and_b32 v26, 0x7fffffff, v2
	s_mov_b32 s2, exec_lo
	s_delay_alu instid0(VALU_DEP_1)
	v_cmpx_gt_u64_e32 0x43e00001, v[26:27]
	s_xor_b32 s4, exec_lo, s2
	s_cbranch_execz .LBB13_105
; %bb.92:
	v_mov_b32_e32 v4, 0
	s_mov_b32 s5, exec_lo
	v_cmpx_ne_u32_e32 0, v2
	s_cbranch_execz .LBB13_104
; %bb.93:
	v_bfe_u32 v4, v2, 23, 8
	v_or_b32_e32 v27, 0x800000, v0
	s_delay_alu instid0(VALU_DEP_2) | instskip(SKIP_1) | instid1(VALU_DEP_2)
	v_sub_nc_u32_e32 v2, 0x79, v4
	v_cmp_gt_u32_e32 vcc_lo, 0x7a, v4
	v_cndmask_b32_e32 v2, 0, v2, vcc_lo
	v_cmp_eq_u32_e32 vcc_lo, 0, v4
	s_delay_alu instid0(VALU_DEP_2) | instskip(NEXT) | instid1(VALU_DEP_1)
	v_cndmask_b32_e64 v26, v2, 0x78, vcc_lo
	v_dual_cndmask_b32 v0, v27, v0 :: v_dual_add_nc_u32 v27, 19, v26
	v_add_nc_u32_e32 v2, 20, v26
	s_delay_alu instid0(VALU_DEP_1) | instskip(NEXT) | instid1(VALU_DEP_1)
	v_lshlrev_b64 v[2:3], v2, -1
	v_not_b32_e32 v29, v2
	s_delay_alu instid0(VALU_DEP_2) | instskip(SKIP_1) | instid1(VALU_DEP_3)
	v_not_b32_e32 v28, v3
	v_lshlrev_b64 v[2:3], v27, 1
	v_and_b32_e32 v27, v0, v29
	v_lshrrev_b64 v[0:1], v26, v[0:1]
	s_delay_alu instid0(VALU_DEP_4) | instskip(NEXT) | instid1(VALU_DEP_1)
	v_and_b32_e32 v28, 0, v28
	v_cmp_eq_u64_e64 s2, v[27:28], v[2:3]
	s_delay_alu instid0(VALU_DEP_3) | instskip(NEXT) | instid1(VALU_DEP_2)
	v_dual_mov_b32 v3, v1 :: v_dual_mov_b32 v2, v0
	s_and_saveexec_b32 s6, s2
; %bb.94:
	v_bfe_u32 v2, v0, 20, 1
	s_delay_alu instid0(VALU_DEP_1) | instskip(NEXT) | instid1(VALU_DEP_1)
	v_add_co_u32 v2, s2, v0, v2
	v_add_co_u32 v2, s2, v2, -1
; %bb.95:
	s_or_b32 exec_lo, exec_lo, s6
	v_add_nc_u32_e32 v3, 0xffffff81, v4
	v_lshrrev_b32_e32 v4, 23, v0
	s_delay_alu instid0(VALU_DEP_3) | instskip(SKIP_1) | instid1(VALU_DEP_3)
	v_and_b32_e32 v2, 0xfffff, v2
	s_mov_b32 s2, exec_lo
	v_cndmask_b32_e64 v3, v3, 0xffffff82, vcc_lo
	s_delay_alu instid0(VALU_DEP_2) | instskip(SKIP_1) | instid1(VALU_DEP_3)
	v_add_co_u32 v0, vcc_lo, v2, v0
	v_add_co_ci_u32_e32 v1, vcc_lo, 0, v1, vcc_lo
	v_add3_u32 v3, v26, v3, v4
                                        ; implicit-def: $vgpr2
	s_delay_alu instid0(VALU_DEP_1) | instskip(NEXT) | instid1(VALU_DEP_1)
	v_add_nc_u32_e32 v4, 6, v3
	v_cmpx_ne_u32_e32 0, v4
	s_xor_b32 s2, exec_lo, s2
; %bb.96:
	v_cmp_lt_u64_e32 vcc_lo, 0xffffff, v[0:1]
	v_add_nc_u32_e32 v2, 7, v3
	v_cndmask_b32_e64 v3, 0, 1, vcc_lo
	s_delay_alu instid0(VALU_DEP_2) | instskip(NEXT) | instid1(VALU_DEP_2)
	v_cndmask_b32_e32 v2, v4, v2, vcc_lo
	v_lshrrev_b64 v[0:1], v3, v[0:1]
; %bb.97:
	s_and_not1_saveexec_b32 s2, s2
; %bb.98:
	s_delay_alu instid0(VALU_DEP_1)
	v_bfe_u32 v2, v0, 23, 1
; %bb.99:
	s_or_b32 exec_lo, exec_lo, s2
	s_delay_alu instid0(VALU_DEP_2) | instskip(NEXT) | instid1(VALU_DEP_2)
	v_lshrrev_b64 v[0:1], 20, v[0:1]
	v_cmp_gt_i32_e32 vcc_lo, 16, v2
	v_cmp_ne_u32_e64 s2, 0, v2
                                        ; implicit-def: $vgpr4
	s_delay_alu instid0(VALU_DEP_3) | instskip(NEXT) | instid1(VALU_DEP_1)
	v_dual_cndmask_b32 v1, 0, v1 :: v_dual_cndmask_b32 v0, 7, v0
	v_cmp_ne_u64_e32 vcc_lo, 0, v[0:1]
	s_delay_alu instid0(VALU_DEP_3) | instskip(NEXT) | instid1(SALU_CYCLE_1)
	s_or_b32 s2, s2, vcc_lo
	s_and_saveexec_b32 s6, s2
	s_delay_alu instid0(SALU_CYCLE_1)
	s_xor_b32 s2, exec_lo, s6
; %bb.100:
	v_min_i32_e32 v1, 15, v2
	s_delay_alu instid0(VALU_DEP_1) | instskip(NEXT) | instid1(VALU_DEP_1)
	v_lshl_or_b32 v1, v1, 3, v25
                                        ; implicit-def: $vgpr25
	v_and_or_b32 v4, v0, 7, v1
; %bb.101:
	s_and_not1_saveexec_b32 s2, s2
; %bb.102:
	v_mov_b32_e32 v4, v25
; %bb.103:
	s_or_b32 exec_lo, exec_lo, s2
.LBB13_104:
	s_delay_alu instid0(SALU_CYCLE_1)
	s_or_b32 exec_lo, exec_lo, s5
.LBB13_105:
	s_and_not1_saveexec_b32 s2, s4
	s_delay_alu instid0(SALU_CYCLE_1)
	s_or_b32 exec_lo, exec_lo, s2
                                        ; implicit-def: $vgpr3
                                        ; implicit-def: $vgpr0_vgpr1
.LBB13_106:
	s_and_not1_saveexec_b32 s2, s3
; %bb.107:
	v_cmp_eq_u64_e32 vcc_lo, 0, v[0:1]
	v_or_b32_e32 v2, 0x7f, v3
	s_delay_alu instid0(VALU_DEP_1)
	v_cndmask_b32_e32 v4, v2, v4, vcc_lo
; %bb.108:
	s_or_b32 exec_lo, exec_lo, s2
	v_dual_mul_f32 v0, v5, v24 :: v_dual_mov_b32 v1, 0
	s_mov_b32 s2, 0xc3e00000
	s_delay_alu instid0(VALU_DEP_1) | instid1(SALU_CYCLE_1)
	v_maxmin_f32 v2, v0, s2, 0x43e00000
	s_mov_b32 s2, exec_lo
	s_delay_alu instid0(VALU_DEP_2) | instskip(NEXT) | instid1(VALU_DEP_2)
	v_mov_b32_e32 v27, v1
	v_lshrrev_b32_e32 v3, 24, v2
	v_and_b32_e32 v26, 0x7f800000, v2
	v_and_b32_e32 v0, 0x7fffff, v2
	s_delay_alu instid0(VALU_DEP_3) | instskip(NEXT) | instid1(VALU_DEP_1)
	v_and_b32_e32 v25, 0x80, v3
	v_or_b32_e32 v5, 0x7e, v25
	s_delay_alu instid0(VALU_DEP_4)
	v_cmpx_ne_u64_e32 0x7f800000, v[26:27]
	s_xor_b32 s3, exec_lo, s2
	s_cbranch_execz .LBB13_124
; %bb.109:
	v_dual_mov_b32 v27, v1 :: v_dual_and_b32 v26, 0x7fffffff, v2
	s_mov_b32 s2, exec_lo
	s_delay_alu instid0(VALU_DEP_1)
	v_cmpx_gt_u64_e32 0x43e00001, v[26:27]
	s_xor_b32 s4, exec_lo, s2
	s_cbranch_execz .LBB13_123
; %bb.110:
	v_mov_b32_e32 v5, 0
	s_mov_b32 s5, exec_lo
	v_cmpx_ne_u32_e32 0, v2
	s_cbranch_execz .LBB13_122
; %bb.111:
	v_bfe_u32 v5, v2, 23, 8
	v_or_b32_e32 v27, 0x800000, v0
	s_delay_alu instid0(VALU_DEP_2) | instskip(SKIP_1) | instid1(VALU_DEP_2)
	v_sub_nc_u32_e32 v2, 0x79, v5
	v_cmp_gt_u32_e32 vcc_lo, 0x7a, v5
	v_cndmask_b32_e32 v2, 0, v2, vcc_lo
	v_cmp_eq_u32_e32 vcc_lo, 0, v5
	s_delay_alu instid0(VALU_DEP_2) | instskip(NEXT) | instid1(VALU_DEP_1)
	v_cndmask_b32_e64 v26, v2, 0x78, vcc_lo
	v_dual_cndmask_b32 v0, v27, v0 :: v_dual_add_nc_u32 v27, 19, v26
	v_add_nc_u32_e32 v2, 20, v26
	s_delay_alu instid0(VALU_DEP_1) | instskip(NEXT) | instid1(VALU_DEP_1)
	v_lshlrev_b64 v[2:3], v2, -1
	v_not_b32_e32 v29, v2
	s_delay_alu instid0(VALU_DEP_2) | instskip(SKIP_1) | instid1(VALU_DEP_3)
	v_not_b32_e32 v28, v3
	v_lshlrev_b64 v[2:3], v27, 1
	v_and_b32_e32 v27, v0, v29
	v_lshrrev_b64 v[0:1], v26, v[0:1]
	s_delay_alu instid0(VALU_DEP_4) | instskip(NEXT) | instid1(VALU_DEP_1)
	v_and_b32_e32 v28, 0, v28
	v_cmp_eq_u64_e64 s2, v[27:28], v[2:3]
	s_delay_alu instid0(VALU_DEP_3) | instskip(NEXT) | instid1(VALU_DEP_2)
	v_dual_mov_b32 v3, v1 :: v_dual_mov_b32 v2, v0
	s_and_saveexec_b32 s6, s2
; %bb.112:
	v_bfe_u32 v2, v0, 20, 1
	s_delay_alu instid0(VALU_DEP_1) | instskip(NEXT) | instid1(VALU_DEP_1)
	v_add_co_u32 v2, s2, v0, v2
	v_add_co_u32 v2, s2, v2, -1
; %bb.113:
	s_or_b32 exec_lo, exec_lo, s6
	v_add_nc_u32_e32 v3, 0xffffff81, v5
	v_lshrrev_b32_e32 v5, 23, v0
	s_delay_alu instid0(VALU_DEP_3) | instskip(SKIP_1) | instid1(VALU_DEP_3)
	v_and_b32_e32 v2, 0xfffff, v2
	s_mov_b32 s2, exec_lo
	v_cndmask_b32_e64 v3, v3, 0xffffff82, vcc_lo
	s_delay_alu instid0(VALU_DEP_2) | instskip(SKIP_1) | instid1(VALU_DEP_3)
	v_add_co_u32 v0, vcc_lo, v2, v0
	v_add_co_ci_u32_e32 v1, vcc_lo, 0, v1, vcc_lo
	v_add3_u32 v3, v26, v3, v5
                                        ; implicit-def: $vgpr2
	s_delay_alu instid0(VALU_DEP_1) | instskip(NEXT) | instid1(VALU_DEP_1)
	v_add_nc_u32_e32 v5, 6, v3
	v_cmpx_ne_u32_e32 0, v5
	s_xor_b32 s2, exec_lo, s2
; %bb.114:
	v_cmp_lt_u64_e32 vcc_lo, 0xffffff, v[0:1]
	v_add_nc_u32_e32 v2, 7, v3
	v_cndmask_b32_e64 v3, 0, 1, vcc_lo
	s_delay_alu instid0(VALU_DEP_2) | instskip(NEXT) | instid1(VALU_DEP_2)
	v_cndmask_b32_e32 v2, v5, v2, vcc_lo
	v_lshrrev_b64 v[0:1], v3, v[0:1]
; %bb.115:
	s_and_not1_saveexec_b32 s2, s2
; %bb.116:
	s_delay_alu instid0(VALU_DEP_1)
	v_bfe_u32 v2, v0, 23, 1
; %bb.117:
	s_or_b32 exec_lo, exec_lo, s2
	s_delay_alu instid0(VALU_DEP_2) | instskip(NEXT) | instid1(VALU_DEP_2)
	v_lshrrev_b64 v[0:1], 20, v[0:1]
	v_cmp_gt_i32_e32 vcc_lo, 16, v2
	v_cmp_ne_u32_e64 s2, 0, v2
                                        ; implicit-def: $vgpr5
	s_delay_alu instid0(VALU_DEP_3) | instskip(NEXT) | instid1(VALU_DEP_1)
	v_dual_cndmask_b32 v1, 0, v1 :: v_dual_cndmask_b32 v0, 7, v0
	v_cmp_ne_u64_e32 vcc_lo, 0, v[0:1]
	s_delay_alu instid0(VALU_DEP_3) | instskip(NEXT) | instid1(SALU_CYCLE_1)
	s_or_b32 s2, s2, vcc_lo
	s_and_saveexec_b32 s6, s2
	s_delay_alu instid0(SALU_CYCLE_1)
	s_xor_b32 s2, exec_lo, s6
; %bb.118:
	v_min_i32_e32 v1, 15, v2
	s_delay_alu instid0(VALU_DEP_1) | instskip(NEXT) | instid1(VALU_DEP_1)
	v_lshl_or_b32 v1, v1, 3, v25
                                        ; implicit-def: $vgpr25
	v_and_or_b32 v5, v0, 7, v1
; %bb.119:
	s_and_not1_saveexec_b32 s2, s2
; %bb.120:
	v_mov_b32_e32 v5, v25
; %bb.121:
	s_or_b32 exec_lo, exec_lo, s2
.LBB13_122:
	s_delay_alu instid0(SALU_CYCLE_1)
	s_or_b32 exec_lo, exec_lo, s5
.LBB13_123:
	s_and_not1_saveexec_b32 s2, s4
	s_delay_alu instid0(SALU_CYCLE_1)
	s_or_b32 exec_lo, exec_lo, s2
                                        ; implicit-def: $vgpr3
                                        ; implicit-def: $vgpr0_vgpr1
.LBB13_124:
	s_and_not1_saveexec_b32 s2, s3
; %bb.125:
	v_cmp_eq_u64_e32 vcc_lo, 0, v[0:1]
	v_or_b32_e32 v2, 0x7f, v3
	s_delay_alu instid0(VALU_DEP_1)
	v_cndmask_b32_e32 v5, v2, v5, vcc_lo
; %bb.126:
	s_or_b32 exec_lo, exec_lo, s2
	v_dual_mul_f32 v0, v6, v24 :: v_dual_mov_b32 v1, 0
	s_mov_b32 s2, 0xc3e00000
	s_delay_alu instid0(VALU_DEP_1) | instid1(SALU_CYCLE_1)
	v_maxmin_f32 v2, v0, s2, 0x43e00000
	s_mov_b32 s2, exec_lo
	s_delay_alu instid0(VALU_DEP_2) | instskip(NEXT) | instid1(VALU_DEP_2)
	v_mov_b32_e32 v27, v1
	v_lshrrev_b32_e32 v3, 24, v2
	v_and_b32_e32 v26, 0x7f800000, v2
	v_and_b32_e32 v0, 0x7fffff, v2
	s_delay_alu instid0(VALU_DEP_3) | instskip(NEXT) | instid1(VALU_DEP_1)
	v_and_b32_e32 v25, 0x80, v3
	v_or_b32_e32 v6, 0x7e, v25
	s_delay_alu instid0(VALU_DEP_4)
	v_cmpx_ne_u64_e32 0x7f800000, v[26:27]
	s_xor_b32 s3, exec_lo, s2
	s_cbranch_execz .LBB13_142
; %bb.127:
	v_dual_mov_b32 v27, v1 :: v_dual_and_b32 v26, 0x7fffffff, v2
	s_mov_b32 s2, exec_lo
	s_delay_alu instid0(VALU_DEP_1)
	v_cmpx_gt_u64_e32 0x43e00001, v[26:27]
	s_xor_b32 s4, exec_lo, s2
	s_cbranch_execz .LBB13_141
; %bb.128:
	v_mov_b32_e32 v6, 0
	s_mov_b32 s5, exec_lo
	v_cmpx_ne_u32_e32 0, v2
	s_cbranch_execz .LBB13_140
; %bb.129:
	v_bfe_u32 v6, v2, 23, 8
	v_or_b32_e32 v27, 0x800000, v0
	s_delay_alu instid0(VALU_DEP_2) | instskip(SKIP_1) | instid1(VALU_DEP_2)
	v_sub_nc_u32_e32 v2, 0x79, v6
	v_cmp_gt_u32_e32 vcc_lo, 0x7a, v6
	v_cndmask_b32_e32 v2, 0, v2, vcc_lo
	v_cmp_eq_u32_e32 vcc_lo, 0, v6
	s_delay_alu instid0(VALU_DEP_2) | instskip(NEXT) | instid1(VALU_DEP_1)
	v_cndmask_b32_e64 v26, v2, 0x78, vcc_lo
	v_dual_cndmask_b32 v0, v27, v0 :: v_dual_add_nc_u32 v27, 19, v26
	v_add_nc_u32_e32 v2, 20, v26
	s_delay_alu instid0(VALU_DEP_1) | instskip(NEXT) | instid1(VALU_DEP_1)
	v_lshlrev_b64 v[2:3], v2, -1
	v_not_b32_e32 v29, v2
	s_delay_alu instid0(VALU_DEP_2) | instskip(SKIP_1) | instid1(VALU_DEP_3)
	v_not_b32_e32 v28, v3
	v_lshlrev_b64 v[2:3], v27, 1
	v_and_b32_e32 v27, v0, v29
	v_lshrrev_b64 v[0:1], v26, v[0:1]
	s_delay_alu instid0(VALU_DEP_4) | instskip(NEXT) | instid1(VALU_DEP_1)
	v_and_b32_e32 v28, 0, v28
	v_cmp_eq_u64_e64 s2, v[27:28], v[2:3]
	s_delay_alu instid0(VALU_DEP_3) | instskip(NEXT) | instid1(VALU_DEP_2)
	v_dual_mov_b32 v3, v1 :: v_dual_mov_b32 v2, v0
	s_and_saveexec_b32 s6, s2
; %bb.130:
	v_bfe_u32 v2, v0, 20, 1
	s_delay_alu instid0(VALU_DEP_1) | instskip(NEXT) | instid1(VALU_DEP_1)
	v_add_co_u32 v2, s2, v0, v2
	v_add_co_u32 v2, s2, v2, -1
; %bb.131:
	s_or_b32 exec_lo, exec_lo, s6
	v_add_nc_u32_e32 v3, 0xffffff81, v6
	v_lshrrev_b32_e32 v6, 23, v0
	s_delay_alu instid0(VALU_DEP_3) | instskip(SKIP_1) | instid1(VALU_DEP_3)
	v_and_b32_e32 v2, 0xfffff, v2
	s_mov_b32 s2, exec_lo
	v_cndmask_b32_e64 v3, v3, 0xffffff82, vcc_lo
	s_delay_alu instid0(VALU_DEP_2) | instskip(SKIP_1) | instid1(VALU_DEP_3)
	v_add_co_u32 v0, vcc_lo, v2, v0
	v_add_co_ci_u32_e32 v1, vcc_lo, 0, v1, vcc_lo
	v_add3_u32 v3, v26, v3, v6
                                        ; implicit-def: $vgpr2
	s_delay_alu instid0(VALU_DEP_1) | instskip(NEXT) | instid1(VALU_DEP_1)
	v_add_nc_u32_e32 v6, 6, v3
	v_cmpx_ne_u32_e32 0, v6
	s_xor_b32 s2, exec_lo, s2
; %bb.132:
	v_cmp_lt_u64_e32 vcc_lo, 0xffffff, v[0:1]
	v_add_nc_u32_e32 v2, 7, v3
	v_cndmask_b32_e64 v3, 0, 1, vcc_lo
	s_delay_alu instid0(VALU_DEP_2) | instskip(NEXT) | instid1(VALU_DEP_2)
	v_cndmask_b32_e32 v2, v6, v2, vcc_lo
	v_lshrrev_b64 v[0:1], v3, v[0:1]
; %bb.133:
	s_and_not1_saveexec_b32 s2, s2
; %bb.134:
	s_delay_alu instid0(VALU_DEP_1)
	v_bfe_u32 v2, v0, 23, 1
; %bb.135:
	s_or_b32 exec_lo, exec_lo, s2
	s_delay_alu instid0(VALU_DEP_2) | instskip(NEXT) | instid1(VALU_DEP_2)
	v_lshrrev_b64 v[0:1], 20, v[0:1]
	v_cmp_gt_i32_e32 vcc_lo, 16, v2
	v_cmp_ne_u32_e64 s2, 0, v2
                                        ; implicit-def: $vgpr6
	s_delay_alu instid0(VALU_DEP_3) | instskip(NEXT) | instid1(VALU_DEP_1)
	v_dual_cndmask_b32 v1, 0, v1 :: v_dual_cndmask_b32 v0, 7, v0
	v_cmp_ne_u64_e32 vcc_lo, 0, v[0:1]
	s_delay_alu instid0(VALU_DEP_3) | instskip(NEXT) | instid1(SALU_CYCLE_1)
	s_or_b32 s2, s2, vcc_lo
	s_and_saveexec_b32 s6, s2
	s_delay_alu instid0(SALU_CYCLE_1)
	s_xor_b32 s2, exec_lo, s6
; %bb.136:
	v_min_i32_e32 v1, 15, v2
	s_delay_alu instid0(VALU_DEP_1) | instskip(NEXT) | instid1(VALU_DEP_1)
	v_lshl_or_b32 v1, v1, 3, v25
                                        ; implicit-def: $vgpr25
	v_and_or_b32 v6, v0, 7, v1
; %bb.137:
	s_and_not1_saveexec_b32 s2, s2
; %bb.138:
	v_mov_b32_e32 v6, v25
; %bb.139:
	s_or_b32 exec_lo, exec_lo, s2
.LBB13_140:
	s_delay_alu instid0(SALU_CYCLE_1)
	s_or_b32 exec_lo, exec_lo, s5
.LBB13_141:
	s_and_not1_saveexec_b32 s2, s4
	s_delay_alu instid0(SALU_CYCLE_1)
	s_or_b32 exec_lo, exec_lo, s2
                                        ; implicit-def: $vgpr3
                                        ; implicit-def: $vgpr0_vgpr1
.LBB13_142:
	s_and_not1_saveexec_b32 s2, s3
; %bb.143:
	v_cmp_eq_u64_e32 vcc_lo, 0, v[0:1]
	v_or_b32_e32 v2, 0x7f, v3
	s_delay_alu instid0(VALU_DEP_1)
	v_cndmask_b32_e32 v6, v2, v6, vcc_lo
; %bb.144:
	s_or_b32 exec_lo, exec_lo, s2
	v_dual_mul_f32 v0, v7, v24 :: v_dual_mov_b32 v1, 0
	s_mov_b32 s2, 0xc3e00000
	s_delay_alu instid0(VALU_DEP_1) | instid1(SALU_CYCLE_1)
	v_maxmin_f32 v2, v0, s2, 0x43e00000
	s_mov_b32 s2, exec_lo
	s_delay_alu instid0(VALU_DEP_2) | instskip(NEXT) | instid1(VALU_DEP_2)
	v_mov_b32_e32 v27, v1
	v_lshrrev_b32_e32 v3, 24, v2
	v_and_b32_e32 v26, 0x7f800000, v2
	v_and_b32_e32 v0, 0x7fffff, v2
	s_delay_alu instid0(VALU_DEP_3) | instskip(NEXT) | instid1(VALU_DEP_1)
	v_and_b32_e32 v25, 0x80, v3
	v_or_b32_e32 v7, 0x7e, v25
	s_delay_alu instid0(VALU_DEP_4)
	v_cmpx_ne_u64_e32 0x7f800000, v[26:27]
	s_xor_b32 s3, exec_lo, s2
	s_cbranch_execz .LBB13_160
; %bb.145:
	v_dual_mov_b32 v27, v1 :: v_dual_and_b32 v26, 0x7fffffff, v2
	s_mov_b32 s2, exec_lo
	s_delay_alu instid0(VALU_DEP_1)
	v_cmpx_gt_u64_e32 0x43e00001, v[26:27]
	s_xor_b32 s4, exec_lo, s2
	s_cbranch_execz .LBB13_159
; %bb.146:
	v_mov_b32_e32 v7, 0
	s_mov_b32 s5, exec_lo
	v_cmpx_ne_u32_e32 0, v2
	s_cbranch_execz .LBB13_158
; %bb.147:
	v_bfe_u32 v7, v2, 23, 8
	v_or_b32_e32 v27, 0x800000, v0
	s_delay_alu instid0(VALU_DEP_2) | instskip(SKIP_1) | instid1(VALU_DEP_2)
	v_sub_nc_u32_e32 v2, 0x79, v7
	v_cmp_gt_u32_e32 vcc_lo, 0x7a, v7
	v_cndmask_b32_e32 v2, 0, v2, vcc_lo
	v_cmp_eq_u32_e32 vcc_lo, 0, v7
	s_delay_alu instid0(VALU_DEP_2) | instskip(NEXT) | instid1(VALU_DEP_1)
	v_cndmask_b32_e64 v26, v2, 0x78, vcc_lo
	v_dual_cndmask_b32 v0, v27, v0 :: v_dual_add_nc_u32 v27, 19, v26
	v_add_nc_u32_e32 v2, 20, v26
	s_delay_alu instid0(VALU_DEP_1) | instskip(NEXT) | instid1(VALU_DEP_1)
	v_lshlrev_b64 v[2:3], v2, -1
	v_not_b32_e32 v29, v2
	s_delay_alu instid0(VALU_DEP_2) | instskip(SKIP_1) | instid1(VALU_DEP_3)
	v_not_b32_e32 v28, v3
	v_lshlrev_b64 v[2:3], v27, 1
	v_and_b32_e32 v27, v0, v29
	v_lshrrev_b64 v[0:1], v26, v[0:1]
	s_delay_alu instid0(VALU_DEP_4) | instskip(NEXT) | instid1(VALU_DEP_1)
	v_and_b32_e32 v28, 0, v28
	v_cmp_eq_u64_e64 s2, v[27:28], v[2:3]
	s_delay_alu instid0(VALU_DEP_3) | instskip(NEXT) | instid1(VALU_DEP_2)
	v_dual_mov_b32 v3, v1 :: v_dual_mov_b32 v2, v0
	s_and_saveexec_b32 s6, s2
; %bb.148:
	v_bfe_u32 v2, v0, 20, 1
	s_delay_alu instid0(VALU_DEP_1) | instskip(NEXT) | instid1(VALU_DEP_1)
	v_add_co_u32 v2, s2, v0, v2
	v_add_co_u32 v2, s2, v2, -1
; %bb.149:
	s_or_b32 exec_lo, exec_lo, s6
	v_add_nc_u32_e32 v3, 0xffffff81, v7
	v_lshrrev_b32_e32 v7, 23, v0
	s_delay_alu instid0(VALU_DEP_3) | instskip(SKIP_1) | instid1(VALU_DEP_3)
	v_and_b32_e32 v2, 0xfffff, v2
	s_mov_b32 s2, exec_lo
	v_cndmask_b32_e64 v3, v3, 0xffffff82, vcc_lo
	s_delay_alu instid0(VALU_DEP_2) | instskip(SKIP_1) | instid1(VALU_DEP_3)
	v_add_co_u32 v0, vcc_lo, v2, v0
	v_add_co_ci_u32_e32 v1, vcc_lo, 0, v1, vcc_lo
	v_add3_u32 v3, v26, v3, v7
                                        ; implicit-def: $vgpr2
	s_delay_alu instid0(VALU_DEP_1) | instskip(NEXT) | instid1(VALU_DEP_1)
	v_add_nc_u32_e32 v7, 6, v3
	v_cmpx_ne_u32_e32 0, v7
	s_xor_b32 s2, exec_lo, s2
; %bb.150:
	v_cmp_lt_u64_e32 vcc_lo, 0xffffff, v[0:1]
	v_add_nc_u32_e32 v2, 7, v3
	v_cndmask_b32_e64 v3, 0, 1, vcc_lo
	s_delay_alu instid0(VALU_DEP_2) | instskip(NEXT) | instid1(VALU_DEP_2)
	v_cndmask_b32_e32 v2, v7, v2, vcc_lo
	v_lshrrev_b64 v[0:1], v3, v[0:1]
; %bb.151:
	s_and_not1_saveexec_b32 s2, s2
; %bb.152:
	s_delay_alu instid0(VALU_DEP_1)
	v_bfe_u32 v2, v0, 23, 1
; %bb.153:
	s_or_b32 exec_lo, exec_lo, s2
	s_delay_alu instid0(VALU_DEP_2) | instskip(NEXT) | instid1(VALU_DEP_2)
	v_lshrrev_b64 v[0:1], 20, v[0:1]
	v_cmp_gt_i32_e32 vcc_lo, 16, v2
	v_cmp_ne_u32_e64 s2, 0, v2
                                        ; implicit-def: $vgpr7
	s_delay_alu instid0(VALU_DEP_3) | instskip(NEXT) | instid1(VALU_DEP_1)
	v_dual_cndmask_b32 v1, 0, v1 :: v_dual_cndmask_b32 v0, 7, v0
	v_cmp_ne_u64_e32 vcc_lo, 0, v[0:1]
	s_delay_alu instid0(VALU_DEP_3) | instskip(NEXT) | instid1(SALU_CYCLE_1)
	s_or_b32 s2, s2, vcc_lo
	s_and_saveexec_b32 s6, s2
	s_delay_alu instid0(SALU_CYCLE_1)
	s_xor_b32 s2, exec_lo, s6
; %bb.154:
	v_min_i32_e32 v1, 15, v2
	s_delay_alu instid0(VALU_DEP_1) | instskip(NEXT) | instid1(VALU_DEP_1)
	v_lshl_or_b32 v1, v1, 3, v25
                                        ; implicit-def: $vgpr25
	v_and_or_b32 v7, v0, 7, v1
; %bb.155:
	s_and_not1_saveexec_b32 s2, s2
; %bb.156:
	v_mov_b32_e32 v7, v25
; %bb.157:
	s_or_b32 exec_lo, exec_lo, s2
.LBB13_158:
	s_delay_alu instid0(SALU_CYCLE_1)
	s_or_b32 exec_lo, exec_lo, s5
.LBB13_159:
	s_and_not1_saveexec_b32 s2, s4
	s_delay_alu instid0(SALU_CYCLE_1)
	s_or_b32 exec_lo, exec_lo, s2
                                        ; implicit-def: $vgpr3
                                        ; implicit-def: $vgpr0_vgpr1
.LBB13_160:
	s_and_not1_saveexec_b32 s2, s3
; %bb.161:
	v_cmp_eq_u64_e32 vcc_lo, 0, v[0:1]
	v_or_b32_e32 v2, 0x7f, v3
	s_delay_alu instid0(VALU_DEP_1)
	v_cndmask_b32_e32 v7, v2, v7, vcc_lo
; %bb.162:
	s_or_b32 exec_lo, exec_lo, s2
	v_dual_mul_f32 v0, v8, v24 :: v_dual_mov_b32 v1, 0
	s_mov_b32 s2, 0xc3e00000
	s_delay_alu instid0(VALU_DEP_1) | instid1(SALU_CYCLE_1)
	v_maxmin_f32 v2, v0, s2, 0x43e00000
	s_mov_b32 s2, exec_lo
	s_delay_alu instid0(VALU_DEP_2) | instskip(NEXT) | instid1(VALU_DEP_2)
	v_mov_b32_e32 v27, v1
	v_lshrrev_b32_e32 v3, 24, v2
	v_and_b32_e32 v26, 0x7f800000, v2
	v_and_b32_e32 v0, 0x7fffff, v2
	s_delay_alu instid0(VALU_DEP_3) | instskip(NEXT) | instid1(VALU_DEP_1)
	v_and_b32_e32 v25, 0x80, v3
	v_or_b32_e32 v8, 0x7e, v25
	s_delay_alu instid0(VALU_DEP_4)
	v_cmpx_ne_u64_e32 0x7f800000, v[26:27]
	s_xor_b32 s3, exec_lo, s2
	s_cbranch_execz .LBB13_178
; %bb.163:
	v_dual_mov_b32 v27, v1 :: v_dual_and_b32 v26, 0x7fffffff, v2
	s_mov_b32 s2, exec_lo
	s_delay_alu instid0(VALU_DEP_1)
	v_cmpx_gt_u64_e32 0x43e00001, v[26:27]
	s_xor_b32 s4, exec_lo, s2
	s_cbranch_execz .LBB13_177
; %bb.164:
	v_mov_b32_e32 v8, 0
	s_mov_b32 s5, exec_lo
	v_cmpx_ne_u32_e32 0, v2
	s_cbranch_execz .LBB13_176
; %bb.165:
	v_bfe_u32 v8, v2, 23, 8
	v_or_b32_e32 v27, 0x800000, v0
	s_delay_alu instid0(VALU_DEP_2) | instskip(SKIP_1) | instid1(VALU_DEP_2)
	v_sub_nc_u32_e32 v2, 0x79, v8
	v_cmp_gt_u32_e32 vcc_lo, 0x7a, v8
	v_cndmask_b32_e32 v2, 0, v2, vcc_lo
	v_cmp_eq_u32_e32 vcc_lo, 0, v8
	s_delay_alu instid0(VALU_DEP_2) | instskip(NEXT) | instid1(VALU_DEP_1)
	v_cndmask_b32_e64 v26, v2, 0x78, vcc_lo
	v_dual_cndmask_b32 v0, v27, v0 :: v_dual_add_nc_u32 v27, 19, v26
	v_add_nc_u32_e32 v2, 20, v26
	s_delay_alu instid0(VALU_DEP_1) | instskip(NEXT) | instid1(VALU_DEP_1)
	v_lshlrev_b64 v[2:3], v2, -1
	v_not_b32_e32 v29, v2
	s_delay_alu instid0(VALU_DEP_2) | instskip(SKIP_1) | instid1(VALU_DEP_3)
	v_not_b32_e32 v28, v3
	v_lshlrev_b64 v[2:3], v27, 1
	v_and_b32_e32 v27, v0, v29
	v_lshrrev_b64 v[0:1], v26, v[0:1]
	s_delay_alu instid0(VALU_DEP_4) | instskip(NEXT) | instid1(VALU_DEP_1)
	v_and_b32_e32 v28, 0, v28
	v_cmp_eq_u64_e64 s2, v[27:28], v[2:3]
	s_delay_alu instid0(VALU_DEP_3) | instskip(NEXT) | instid1(VALU_DEP_2)
	v_dual_mov_b32 v3, v1 :: v_dual_mov_b32 v2, v0
	s_and_saveexec_b32 s6, s2
; %bb.166:
	v_bfe_u32 v2, v0, 20, 1
	s_delay_alu instid0(VALU_DEP_1) | instskip(NEXT) | instid1(VALU_DEP_1)
	v_add_co_u32 v2, s2, v0, v2
	v_add_co_u32 v2, s2, v2, -1
; %bb.167:
	s_or_b32 exec_lo, exec_lo, s6
	v_add_nc_u32_e32 v3, 0xffffff81, v8
	v_lshrrev_b32_e32 v8, 23, v0
	s_delay_alu instid0(VALU_DEP_3) | instskip(SKIP_1) | instid1(VALU_DEP_3)
	v_and_b32_e32 v2, 0xfffff, v2
	s_mov_b32 s2, exec_lo
	v_cndmask_b32_e64 v3, v3, 0xffffff82, vcc_lo
	s_delay_alu instid0(VALU_DEP_2) | instskip(SKIP_1) | instid1(VALU_DEP_3)
	v_add_co_u32 v0, vcc_lo, v2, v0
	v_add_co_ci_u32_e32 v1, vcc_lo, 0, v1, vcc_lo
	v_add3_u32 v3, v26, v3, v8
                                        ; implicit-def: $vgpr2
	s_delay_alu instid0(VALU_DEP_1) | instskip(NEXT) | instid1(VALU_DEP_1)
	v_add_nc_u32_e32 v8, 6, v3
	v_cmpx_ne_u32_e32 0, v8
	s_xor_b32 s2, exec_lo, s2
; %bb.168:
	v_cmp_lt_u64_e32 vcc_lo, 0xffffff, v[0:1]
	v_add_nc_u32_e32 v2, 7, v3
	v_cndmask_b32_e64 v3, 0, 1, vcc_lo
	s_delay_alu instid0(VALU_DEP_2) | instskip(NEXT) | instid1(VALU_DEP_2)
	v_cndmask_b32_e32 v2, v8, v2, vcc_lo
	v_lshrrev_b64 v[0:1], v3, v[0:1]
; %bb.169:
	s_and_not1_saveexec_b32 s2, s2
; %bb.170:
	s_delay_alu instid0(VALU_DEP_1)
	v_bfe_u32 v2, v0, 23, 1
; %bb.171:
	s_or_b32 exec_lo, exec_lo, s2
	s_delay_alu instid0(VALU_DEP_2) | instskip(NEXT) | instid1(VALU_DEP_2)
	v_lshrrev_b64 v[0:1], 20, v[0:1]
	v_cmp_gt_i32_e32 vcc_lo, 16, v2
	v_cmp_ne_u32_e64 s2, 0, v2
                                        ; implicit-def: $vgpr8
	s_delay_alu instid0(VALU_DEP_3) | instskip(NEXT) | instid1(VALU_DEP_1)
	v_dual_cndmask_b32 v1, 0, v1 :: v_dual_cndmask_b32 v0, 7, v0
	v_cmp_ne_u64_e32 vcc_lo, 0, v[0:1]
	s_delay_alu instid0(VALU_DEP_3) | instskip(NEXT) | instid1(SALU_CYCLE_1)
	s_or_b32 s2, s2, vcc_lo
	s_and_saveexec_b32 s6, s2
	s_delay_alu instid0(SALU_CYCLE_1)
	s_xor_b32 s2, exec_lo, s6
; %bb.172:
	v_min_i32_e32 v1, 15, v2
	s_delay_alu instid0(VALU_DEP_1) | instskip(NEXT) | instid1(VALU_DEP_1)
	v_lshl_or_b32 v1, v1, 3, v25
                                        ; implicit-def: $vgpr25
	v_and_or_b32 v8, v0, 7, v1
; %bb.173:
	s_and_not1_saveexec_b32 s2, s2
; %bb.174:
	v_mov_b32_e32 v8, v25
; %bb.175:
	s_or_b32 exec_lo, exec_lo, s2
.LBB13_176:
	s_delay_alu instid0(SALU_CYCLE_1)
	s_or_b32 exec_lo, exec_lo, s5
.LBB13_177:
	s_and_not1_saveexec_b32 s2, s4
	s_delay_alu instid0(SALU_CYCLE_1)
	s_or_b32 exec_lo, exec_lo, s2
                                        ; implicit-def: $vgpr3
                                        ; implicit-def: $vgpr0_vgpr1
.LBB13_178:
	s_and_not1_saveexec_b32 s2, s3
; %bb.179:
	v_cmp_eq_u64_e32 vcc_lo, 0, v[0:1]
	v_or_b32_e32 v2, 0x7f, v3
	s_delay_alu instid0(VALU_DEP_1)
	v_cndmask_b32_e32 v8, v2, v8, vcc_lo
; %bb.180:
	s_or_b32 exec_lo, exec_lo, s2
	v_dual_mul_f32 v0, v9, v24 :: v_dual_mov_b32 v1, 0
	s_mov_b32 s2, 0xc3e00000
	s_delay_alu instid0(VALU_DEP_1) | instid1(SALU_CYCLE_1)
	v_maxmin_f32 v2, v0, s2, 0x43e00000
	s_mov_b32 s2, exec_lo
	s_delay_alu instid0(VALU_DEP_2) | instskip(NEXT) | instid1(VALU_DEP_2)
	v_mov_b32_e32 v27, v1
	v_lshrrev_b32_e32 v3, 24, v2
	v_and_b32_e32 v26, 0x7f800000, v2
	v_and_b32_e32 v0, 0x7fffff, v2
	s_delay_alu instid0(VALU_DEP_3) | instskip(NEXT) | instid1(VALU_DEP_1)
	v_and_b32_e32 v25, 0x80, v3
	v_or_b32_e32 v9, 0x7e, v25
	s_delay_alu instid0(VALU_DEP_4)
	v_cmpx_ne_u64_e32 0x7f800000, v[26:27]
	s_xor_b32 s3, exec_lo, s2
	s_cbranch_execz .LBB13_196
; %bb.181:
	v_dual_mov_b32 v27, v1 :: v_dual_and_b32 v26, 0x7fffffff, v2
	s_mov_b32 s2, exec_lo
	s_delay_alu instid0(VALU_DEP_1)
	v_cmpx_gt_u64_e32 0x43e00001, v[26:27]
	s_xor_b32 s4, exec_lo, s2
	s_cbranch_execz .LBB13_195
; %bb.182:
	v_mov_b32_e32 v9, 0
	s_mov_b32 s5, exec_lo
	v_cmpx_ne_u32_e32 0, v2
	s_cbranch_execz .LBB13_194
; %bb.183:
	v_bfe_u32 v9, v2, 23, 8
	v_or_b32_e32 v27, 0x800000, v0
	s_delay_alu instid0(VALU_DEP_2) | instskip(SKIP_1) | instid1(VALU_DEP_2)
	v_sub_nc_u32_e32 v2, 0x79, v9
	v_cmp_gt_u32_e32 vcc_lo, 0x7a, v9
	v_cndmask_b32_e32 v2, 0, v2, vcc_lo
	v_cmp_eq_u32_e32 vcc_lo, 0, v9
	s_delay_alu instid0(VALU_DEP_2) | instskip(NEXT) | instid1(VALU_DEP_1)
	v_cndmask_b32_e64 v26, v2, 0x78, vcc_lo
	v_dual_cndmask_b32 v0, v27, v0 :: v_dual_add_nc_u32 v27, 19, v26
	v_add_nc_u32_e32 v2, 20, v26
	s_delay_alu instid0(VALU_DEP_1) | instskip(NEXT) | instid1(VALU_DEP_1)
	v_lshlrev_b64 v[2:3], v2, -1
	v_not_b32_e32 v29, v2
	s_delay_alu instid0(VALU_DEP_2) | instskip(SKIP_1) | instid1(VALU_DEP_3)
	v_not_b32_e32 v28, v3
	v_lshlrev_b64 v[2:3], v27, 1
	v_and_b32_e32 v27, v0, v29
	v_lshrrev_b64 v[0:1], v26, v[0:1]
	s_delay_alu instid0(VALU_DEP_4) | instskip(NEXT) | instid1(VALU_DEP_1)
	v_and_b32_e32 v28, 0, v28
	v_cmp_eq_u64_e64 s2, v[27:28], v[2:3]
	s_delay_alu instid0(VALU_DEP_3) | instskip(NEXT) | instid1(VALU_DEP_2)
	v_dual_mov_b32 v3, v1 :: v_dual_mov_b32 v2, v0
	s_and_saveexec_b32 s6, s2
; %bb.184:
	v_bfe_u32 v2, v0, 20, 1
	s_delay_alu instid0(VALU_DEP_1) | instskip(NEXT) | instid1(VALU_DEP_1)
	v_add_co_u32 v2, s2, v0, v2
	v_add_co_u32 v2, s2, v2, -1
; %bb.185:
	s_or_b32 exec_lo, exec_lo, s6
	v_add_nc_u32_e32 v3, 0xffffff81, v9
	v_lshrrev_b32_e32 v9, 23, v0
	s_delay_alu instid0(VALU_DEP_3) | instskip(SKIP_1) | instid1(VALU_DEP_3)
	v_and_b32_e32 v2, 0xfffff, v2
	s_mov_b32 s2, exec_lo
	v_cndmask_b32_e64 v3, v3, 0xffffff82, vcc_lo
	s_delay_alu instid0(VALU_DEP_2) | instskip(SKIP_1) | instid1(VALU_DEP_3)
	v_add_co_u32 v0, vcc_lo, v2, v0
	v_add_co_ci_u32_e32 v1, vcc_lo, 0, v1, vcc_lo
	v_add3_u32 v3, v26, v3, v9
                                        ; implicit-def: $vgpr2
	s_delay_alu instid0(VALU_DEP_1) | instskip(NEXT) | instid1(VALU_DEP_1)
	v_add_nc_u32_e32 v9, 6, v3
	v_cmpx_ne_u32_e32 0, v9
	s_xor_b32 s2, exec_lo, s2
; %bb.186:
	v_cmp_lt_u64_e32 vcc_lo, 0xffffff, v[0:1]
	v_add_nc_u32_e32 v2, 7, v3
	v_cndmask_b32_e64 v3, 0, 1, vcc_lo
	s_delay_alu instid0(VALU_DEP_2) | instskip(NEXT) | instid1(VALU_DEP_2)
	v_cndmask_b32_e32 v2, v9, v2, vcc_lo
	v_lshrrev_b64 v[0:1], v3, v[0:1]
; %bb.187:
	s_and_not1_saveexec_b32 s2, s2
; %bb.188:
	s_delay_alu instid0(VALU_DEP_1)
	v_bfe_u32 v2, v0, 23, 1
; %bb.189:
	s_or_b32 exec_lo, exec_lo, s2
	s_delay_alu instid0(VALU_DEP_2) | instskip(NEXT) | instid1(VALU_DEP_2)
	v_lshrrev_b64 v[0:1], 20, v[0:1]
	v_cmp_gt_i32_e32 vcc_lo, 16, v2
	v_cmp_ne_u32_e64 s2, 0, v2
                                        ; implicit-def: $vgpr9
	s_delay_alu instid0(VALU_DEP_3) | instskip(NEXT) | instid1(VALU_DEP_1)
	v_dual_cndmask_b32 v1, 0, v1 :: v_dual_cndmask_b32 v0, 7, v0
	v_cmp_ne_u64_e32 vcc_lo, 0, v[0:1]
	s_delay_alu instid0(VALU_DEP_3) | instskip(NEXT) | instid1(SALU_CYCLE_1)
	s_or_b32 s2, s2, vcc_lo
	s_and_saveexec_b32 s6, s2
	s_delay_alu instid0(SALU_CYCLE_1)
	s_xor_b32 s2, exec_lo, s6
; %bb.190:
	v_min_i32_e32 v1, 15, v2
	s_delay_alu instid0(VALU_DEP_1) | instskip(NEXT) | instid1(VALU_DEP_1)
	v_lshl_or_b32 v1, v1, 3, v25
                                        ; implicit-def: $vgpr25
	v_and_or_b32 v9, v0, 7, v1
; %bb.191:
	s_and_not1_saveexec_b32 s2, s2
; %bb.192:
	v_mov_b32_e32 v9, v25
; %bb.193:
	s_or_b32 exec_lo, exec_lo, s2
.LBB13_194:
	s_delay_alu instid0(SALU_CYCLE_1)
	s_or_b32 exec_lo, exec_lo, s5
.LBB13_195:
	s_and_not1_saveexec_b32 s2, s4
	s_delay_alu instid0(SALU_CYCLE_1)
	s_or_b32 exec_lo, exec_lo, s2
                                        ; implicit-def: $vgpr3
                                        ; implicit-def: $vgpr0_vgpr1
.LBB13_196:
	s_and_not1_saveexec_b32 s2, s3
; %bb.197:
	v_cmp_eq_u64_e32 vcc_lo, 0, v[0:1]
	v_or_b32_e32 v2, 0x7f, v3
	s_delay_alu instid0(VALU_DEP_1)
	v_cndmask_b32_e32 v9, v2, v9, vcc_lo
; %bb.198:
	s_or_b32 exec_lo, exec_lo, s2
	v_dual_mul_f32 v0, v10, v24 :: v_dual_mov_b32 v1, 0
	s_mov_b32 s2, 0xc3e00000
	s_delay_alu instid0(VALU_DEP_1) | instid1(SALU_CYCLE_1)
	v_maxmin_f32 v2, v0, s2, 0x43e00000
	s_mov_b32 s2, exec_lo
	s_delay_alu instid0(VALU_DEP_2) | instskip(NEXT) | instid1(VALU_DEP_2)
	v_mov_b32_e32 v27, v1
	v_lshrrev_b32_e32 v3, 24, v2
	v_and_b32_e32 v26, 0x7f800000, v2
	v_and_b32_e32 v0, 0x7fffff, v2
	s_delay_alu instid0(VALU_DEP_3) | instskip(NEXT) | instid1(VALU_DEP_1)
	v_and_b32_e32 v25, 0x80, v3
	v_or_b32_e32 v10, 0x7e, v25
	s_delay_alu instid0(VALU_DEP_4)
	v_cmpx_ne_u64_e32 0x7f800000, v[26:27]
	s_xor_b32 s3, exec_lo, s2
	s_cbranch_execz .LBB13_214
; %bb.199:
	v_dual_mov_b32 v27, v1 :: v_dual_and_b32 v26, 0x7fffffff, v2
	s_mov_b32 s2, exec_lo
	s_delay_alu instid0(VALU_DEP_1)
	v_cmpx_gt_u64_e32 0x43e00001, v[26:27]
	s_xor_b32 s4, exec_lo, s2
	s_cbranch_execz .LBB13_213
; %bb.200:
	v_mov_b32_e32 v10, 0
	s_mov_b32 s5, exec_lo
	v_cmpx_ne_u32_e32 0, v2
	s_cbranch_execz .LBB13_212
; %bb.201:
	v_bfe_u32 v10, v2, 23, 8
	v_or_b32_e32 v27, 0x800000, v0
	s_delay_alu instid0(VALU_DEP_2) | instskip(SKIP_1) | instid1(VALU_DEP_2)
	v_sub_nc_u32_e32 v2, 0x79, v10
	v_cmp_gt_u32_e32 vcc_lo, 0x7a, v10
	v_cndmask_b32_e32 v2, 0, v2, vcc_lo
	v_cmp_eq_u32_e32 vcc_lo, 0, v10
	s_delay_alu instid0(VALU_DEP_2) | instskip(NEXT) | instid1(VALU_DEP_1)
	v_cndmask_b32_e64 v26, v2, 0x78, vcc_lo
	v_dual_cndmask_b32 v0, v27, v0 :: v_dual_add_nc_u32 v27, 19, v26
	v_add_nc_u32_e32 v2, 20, v26
	s_delay_alu instid0(VALU_DEP_1) | instskip(NEXT) | instid1(VALU_DEP_1)
	v_lshlrev_b64 v[2:3], v2, -1
	v_not_b32_e32 v29, v2
	s_delay_alu instid0(VALU_DEP_2) | instskip(SKIP_1) | instid1(VALU_DEP_3)
	v_not_b32_e32 v28, v3
	v_lshlrev_b64 v[2:3], v27, 1
	v_and_b32_e32 v27, v0, v29
	v_lshrrev_b64 v[0:1], v26, v[0:1]
	s_delay_alu instid0(VALU_DEP_4) | instskip(NEXT) | instid1(VALU_DEP_1)
	v_and_b32_e32 v28, 0, v28
	v_cmp_eq_u64_e64 s2, v[27:28], v[2:3]
	s_delay_alu instid0(VALU_DEP_3) | instskip(NEXT) | instid1(VALU_DEP_2)
	v_dual_mov_b32 v3, v1 :: v_dual_mov_b32 v2, v0
	s_and_saveexec_b32 s6, s2
; %bb.202:
	v_bfe_u32 v2, v0, 20, 1
	s_delay_alu instid0(VALU_DEP_1) | instskip(NEXT) | instid1(VALU_DEP_1)
	v_add_co_u32 v2, s2, v0, v2
	v_add_co_u32 v2, s2, v2, -1
; %bb.203:
	s_or_b32 exec_lo, exec_lo, s6
	v_add_nc_u32_e32 v3, 0xffffff81, v10
	v_lshrrev_b32_e32 v10, 23, v0
	s_delay_alu instid0(VALU_DEP_3) | instskip(SKIP_1) | instid1(VALU_DEP_3)
	v_and_b32_e32 v2, 0xfffff, v2
	s_mov_b32 s2, exec_lo
	v_cndmask_b32_e64 v3, v3, 0xffffff82, vcc_lo
	s_delay_alu instid0(VALU_DEP_2) | instskip(SKIP_1) | instid1(VALU_DEP_3)
	v_add_co_u32 v0, vcc_lo, v2, v0
	v_add_co_ci_u32_e32 v1, vcc_lo, 0, v1, vcc_lo
	v_add3_u32 v3, v26, v3, v10
                                        ; implicit-def: $vgpr2
	s_delay_alu instid0(VALU_DEP_1) | instskip(NEXT) | instid1(VALU_DEP_1)
	v_add_nc_u32_e32 v10, 6, v3
	v_cmpx_ne_u32_e32 0, v10
	s_xor_b32 s2, exec_lo, s2
; %bb.204:
	v_cmp_lt_u64_e32 vcc_lo, 0xffffff, v[0:1]
	v_add_nc_u32_e32 v2, 7, v3
	v_cndmask_b32_e64 v3, 0, 1, vcc_lo
	s_delay_alu instid0(VALU_DEP_2) | instskip(NEXT) | instid1(VALU_DEP_2)
	v_cndmask_b32_e32 v2, v10, v2, vcc_lo
	v_lshrrev_b64 v[0:1], v3, v[0:1]
; %bb.205:
	s_and_not1_saveexec_b32 s2, s2
; %bb.206:
	s_delay_alu instid0(VALU_DEP_1)
	v_bfe_u32 v2, v0, 23, 1
; %bb.207:
	s_or_b32 exec_lo, exec_lo, s2
	s_delay_alu instid0(VALU_DEP_2) | instskip(NEXT) | instid1(VALU_DEP_2)
	v_lshrrev_b64 v[0:1], 20, v[0:1]
	v_cmp_gt_i32_e32 vcc_lo, 16, v2
	v_cmp_ne_u32_e64 s2, 0, v2
                                        ; implicit-def: $vgpr10
	s_delay_alu instid0(VALU_DEP_3) | instskip(NEXT) | instid1(VALU_DEP_1)
	v_dual_cndmask_b32 v1, 0, v1 :: v_dual_cndmask_b32 v0, 7, v0
	v_cmp_ne_u64_e32 vcc_lo, 0, v[0:1]
	s_delay_alu instid0(VALU_DEP_3) | instskip(NEXT) | instid1(SALU_CYCLE_1)
	s_or_b32 s2, s2, vcc_lo
	s_and_saveexec_b32 s6, s2
	s_delay_alu instid0(SALU_CYCLE_1)
	s_xor_b32 s2, exec_lo, s6
; %bb.208:
	v_min_i32_e32 v1, 15, v2
	s_delay_alu instid0(VALU_DEP_1) | instskip(NEXT) | instid1(VALU_DEP_1)
	v_lshl_or_b32 v1, v1, 3, v25
                                        ; implicit-def: $vgpr25
	v_and_or_b32 v10, v0, 7, v1
; %bb.209:
	s_and_not1_saveexec_b32 s2, s2
; %bb.210:
	v_mov_b32_e32 v10, v25
; %bb.211:
	s_or_b32 exec_lo, exec_lo, s2
.LBB13_212:
	s_delay_alu instid0(SALU_CYCLE_1)
	s_or_b32 exec_lo, exec_lo, s5
.LBB13_213:
	s_and_not1_saveexec_b32 s2, s4
	s_delay_alu instid0(SALU_CYCLE_1)
	s_or_b32 exec_lo, exec_lo, s2
                                        ; implicit-def: $vgpr3
                                        ; implicit-def: $vgpr0_vgpr1
.LBB13_214:
	s_and_not1_saveexec_b32 s2, s3
; %bb.215:
	v_cmp_eq_u64_e32 vcc_lo, 0, v[0:1]
	v_or_b32_e32 v2, 0x7f, v3
	s_delay_alu instid0(VALU_DEP_1)
	v_cndmask_b32_e32 v10, v2, v10, vcc_lo
; %bb.216:
	s_or_b32 exec_lo, exec_lo, s2
	v_dual_mul_f32 v0, v11, v24 :: v_dual_mov_b32 v1, 0
	s_mov_b32 s2, 0xc3e00000
	s_delay_alu instid0(VALU_DEP_1) | instid1(SALU_CYCLE_1)
	v_maxmin_f32 v2, v0, s2, 0x43e00000
	s_mov_b32 s2, exec_lo
	s_delay_alu instid0(VALU_DEP_2) | instskip(NEXT) | instid1(VALU_DEP_2)
	v_mov_b32_e32 v27, v1
	v_lshrrev_b32_e32 v3, 24, v2
	v_and_b32_e32 v26, 0x7f800000, v2
	v_and_b32_e32 v0, 0x7fffff, v2
	s_delay_alu instid0(VALU_DEP_3) | instskip(NEXT) | instid1(VALU_DEP_1)
	v_and_b32_e32 v25, 0x80, v3
	v_or_b32_e32 v11, 0x7e, v25
	s_delay_alu instid0(VALU_DEP_4)
	v_cmpx_ne_u64_e32 0x7f800000, v[26:27]
	s_xor_b32 s3, exec_lo, s2
	s_cbranch_execz .LBB13_232
; %bb.217:
	v_dual_mov_b32 v27, v1 :: v_dual_and_b32 v26, 0x7fffffff, v2
	s_mov_b32 s2, exec_lo
	s_delay_alu instid0(VALU_DEP_1)
	v_cmpx_gt_u64_e32 0x43e00001, v[26:27]
	s_xor_b32 s4, exec_lo, s2
	s_cbranch_execz .LBB13_231
; %bb.218:
	v_mov_b32_e32 v11, 0
	s_mov_b32 s5, exec_lo
	v_cmpx_ne_u32_e32 0, v2
	s_cbranch_execz .LBB13_230
; %bb.219:
	v_bfe_u32 v11, v2, 23, 8
	v_or_b32_e32 v27, 0x800000, v0
	s_delay_alu instid0(VALU_DEP_2) | instskip(SKIP_1) | instid1(VALU_DEP_2)
	v_sub_nc_u32_e32 v2, 0x79, v11
	v_cmp_gt_u32_e32 vcc_lo, 0x7a, v11
	v_cndmask_b32_e32 v2, 0, v2, vcc_lo
	v_cmp_eq_u32_e32 vcc_lo, 0, v11
	s_delay_alu instid0(VALU_DEP_2) | instskip(NEXT) | instid1(VALU_DEP_1)
	v_cndmask_b32_e64 v26, v2, 0x78, vcc_lo
	v_dual_cndmask_b32 v0, v27, v0 :: v_dual_add_nc_u32 v27, 19, v26
	v_add_nc_u32_e32 v2, 20, v26
	s_delay_alu instid0(VALU_DEP_1) | instskip(NEXT) | instid1(VALU_DEP_1)
	v_lshlrev_b64 v[2:3], v2, -1
	v_not_b32_e32 v29, v2
	s_delay_alu instid0(VALU_DEP_2) | instskip(SKIP_1) | instid1(VALU_DEP_3)
	v_not_b32_e32 v28, v3
	v_lshlrev_b64 v[2:3], v27, 1
	v_and_b32_e32 v27, v0, v29
	v_lshrrev_b64 v[0:1], v26, v[0:1]
	s_delay_alu instid0(VALU_DEP_4) | instskip(NEXT) | instid1(VALU_DEP_1)
	v_and_b32_e32 v28, 0, v28
	v_cmp_eq_u64_e64 s2, v[27:28], v[2:3]
	s_delay_alu instid0(VALU_DEP_3) | instskip(NEXT) | instid1(VALU_DEP_2)
	v_dual_mov_b32 v3, v1 :: v_dual_mov_b32 v2, v0
	s_and_saveexec_b32 s6, s2
; %bb.220:
	v_bfe_u32 v2, v0, 20, 1
	s_delay_alu instid0(VALU_DEP_1) | instskip(NEXT) | instid1(VALU_DEP_1)
	v_add_co_u32 v2, s2, v0, v2
	v_add_co_u32 v2, s2, v2, -1
; %bb.221:
	s_or_b32 exec_lo, exec_lo, s6
	v_add_nc_u32_e32 v3, 0xffffff81, v11
	v_lshrrev_b32_e32 v11, 23, v0
	s_delay_alu instid0(VALU_DEP_3) | instskip(SKIP_1) | instid1(VALU_DEP_3)
	v_and_b32_e32 v2, 0xfffff, v2
	s_mov_b32 s2, exec_lo
	v_cndmask_b32_e64 v3, v3, 0xffffff82, vcc_lo
	s_delay_alu instid0(VALU_DEP_2) | instskip(SKIP_1) | instid1(VALU_DEP_3)
	v_add_co_u32 v0, vcc_lo, v2, v0
	v_add_co_ci_u32_e32 v1, vcc_lo, 0, v1, vcc_lo
	v_add3_u32 v3, v26, v3, v11
                                        ; implicit-def: $vgpr2
	s_delay_alu instid0(VALU_DEP_1) | instskip(NEXT) | instid1(VALU_DEP_1)
	v_add_nc_u32_e32 v11, 6, v3
	v_cmpx_ne_u32_e32 0, v11
	s_xor_b32 s2, exec_lo, s2
; %bb.222:
	v_cmp_lt_u64_e32 vcc_lo, 0xffffff, v[0:1]
	v_add_nc_u32_e32 v2, 7, v3
	v_cndmask_b32_e64 v3, 0, 1, vcc_lo
	s_delay_alu instid0(VALU_DEP_2) | instskip(NEXT) | instid1(VALU_DEP_2)
	v_cndmask_b32_e32 v2, v11, v2, vcc_lo
	v_lshrrev_b64 v[0:1], v3, v[0:1]
; %bb.223:
	s_and_not1_saveexec_b32 s2, s2
; %bb.224:
	s_delay_alu instid0(VALU_DEP_1)
	v_bfe_u32 v2, v0, 23, 1
; %bb.225:
	s_or_b32 exec_lo, exec_lo, s2
	s_delay_alu instid0(VALU_DEP_2) | instskip(NEXT) | instid1(VALU_DEP_2)
	v_lshrrev_b64 v[0:1], 20, v[0:1]
	v_cmp_gt_i32_e32 vcc_lo, 16, v2
	v_cmp_ne_u32_e64 s2, 0, v2
                                        ; implicit-def: $vgpr11
	s_delay_alu instid0(VALU_DEP_3) | instskip(NEXT) | instid1(VALU_DEP_1)
	v_dual_cndmask_b32 v1, 0, v1 :: v_dual_cndmask_b32 v0, 7, v0
	v_cmp_ne_u64_e32 vcc_lo, 0, v[0:1]
	s_delay_alu instid0(VALU_DEP_3) | instskip(NEXT) | instid1(SALU_CYCLE_1)
	s_or_b32 s2, s2, vcc_lo
	s_and_saveexec_b32 s6, s2
	s_delay_alu instid0(SALU_CYCLE_1)
	s_xor_b32 s2, exec_lo, s6
; %bb.226:
	v_min_i32_e32 v1, 15, v2
	s_delay_alu instid0(VALU_DEP_1) | instskip(NEXT) | instid1(VALU_DEP_1)
	v_lshl_or_b32 v1, v1, 3, v25
                                        ; implicit-def: $vgpr25
	v_and_or_b32 v11, v0, 7, v1
; %bb.227:
	s_and_not1_saveexec_b32 s2, s2
; %bb.228:
	v_mov_b32_e32 v11, v25
; %bb.229:
	s_or_b32 exec_lo, exec_lo, s2
.LBB13_230:
	s_delay_alu instid0(SALU_CYCLE_1)
	s_or_b32 exec_lo, exec_lo, s5
.LBB13_231:
	s_and_not1_saveexec_b32 s2, s4
	s_delay_alu instid0(SALU_CYCLE_1)
	s_or_b32 exec_lo, exec_lo, s2
                                        ; implicit-def: $vgpr3
                                        ; implicit-def: $vgpr0_vgpr1
.LBB13_232:
	s_and_not1_saveexec_b32 s2, s3
; %bb.233:
	v_cmp_eq_u64_e32 vcc_lo, 0, v[0:1]
	v_or_b32_e32 v2, 0x7f, v3
	s_delay_alu instid0(VALU_DEP_1)
	v_cndmask_b32_e32 v11, v2, v11, vcc_lo
; %bb.234:
	s_or_b32 exec_lo, exec_lo, s2
	v_dual_mul_f32 v0, v12, v24 :: v_dual_mov_b32 v1, 0
	s_mov_b32 s2, 0xc3e00000
	s_delay_alu instid0(VALU_DEP_1) | instid1(SALU_CYCLE_1)
	v_maxmin_f32 v2, v0, s2, 0x43e00000
	s_mov_b32 s2, exec_lo
	s_delay_alu instid0(VALU_DEP_2) | instskip(NEXT) | instid1(VALU_DEP_2)
	v_mov_b32_e32 v27, v1
	v_lshrrev_b32_e32 v3, 24, v2
	v_and_b32_e32 v26, 0x7f800000, v2
	v_and_b32_e32 v0, 0x7fffff, v2
	s_delay_alu instid0(VALU_DEP_3) | instskip(NEXT) | instid1(VALU_DEP_1)
	v_and_b32_e32 v25, 0x80, v3
	v_or_b32_e32 v12, 0x7e, v25
	s_delay_alu instid0(VALU_DEP_4)
	v_cmpx_ne_u64_e32 0x7f800000, v[26:27]
	s_xor_b32 s3, exec_lo, s2
	s_cbranch_execz .LBB13_250
; %bb.235:
	v_dual_mov_b32 v27, v1 :: v_dual_and_b32 v26, 0x7fffffff, v2
	s_mov_b32 s2, exec_lo
	s_delay_alu instid0(VALU_DEP_1)
	v_cmpx_gt_u64_e32 0x43e00001, v[26:27]
	s_xor_b32 s4, exec_lo, s2
	s_cbranch_execz .LBB13_249
; %bb.236:
	v_mov_b32_e32 v12, 0
	s_mov_b32 s5, exec_lo
	v_cmpx_ne_u32_e32 0, v2
	s_cbranch_execz .LBB13_248
; %bb.237:
	v_bfe_u32 v12, v2, 23, 8
	v_or_b32_e32 v27, 0x800000, v0
	s_delay_alu instid0(VALU_DEP_2) | instskip(SKIP_1) | instid1(VALU_DEP_2)
	v_sub_nc_u32_e32 v2, 0x79, v12
	v_cmp_gt_u32_e32 vcc_lo, 0x7a, v12
	v_cndmask_b32_e32 v2, 0, v2, vcc_lo
	v_cmp_eq_u32_e32 vcc_lo, 0, v12
	s_delay_alu instid0(VALU_DEP_2) | instskip(NEXT) | instid1(VALU_DEP_1)
	v_cndmask_b32_e64 v26, v2, 0x78, vcc_lo
	v_dual_cndmask_b32 v0, v27, v0 :: v_dual_add_nc_u32 v27, 19, v26
	v_add_nc_u32_e32 v2, 20, v26
	s_delay_alu instid0(VALU_DEP_1) | instskip(NEXT) | instid1(VALU_DEP_1)
	v_lshlrev_b64 v[2:3], v2, -1
	v_not_b32_e32 v29, v2
	s_delay_alu instid0(VALU_DEP_2) | instskip(SKIP_1) | instid1(VALU_DEP_3)
	v_not_b32_e32 v28, v3
	v_lshlrev_b64 v[2:3], v27, 1
	v_and_b32_e32 v27, v0, v29
	v_lshrrev_b64 v[0:1], v26, v[0:1]
	s_delay_alu instid0(VALU_DEP_4) | instskip(NEXT) | instid1(VALU_DEP_1)
	v_and_b32_e32 v28, 0, v28
	v_cmp_eq_u64_e64 s2, v[27:28], v[2:3]
	s_delay_alu instid0(VALU_DEP_3) | instskip(NEXT) | instid1(VALU_DEP_2)
	v_dual_mov_b32 v3, v1 :: v_dual_mov_b32 v2, v0
	s_and_saveexec_b32 s6, s2
; %bb.238:
	v_bfe_u32 v2, v0, 20, 1
	s_delay_alu instid0(VALU_DEP_1) | instskip(NEXT) | instid1(VALU_DEP_1)
	v_add_co_u32 v2, s2, v0, v2
	v_add_co_u32 v2, s2, v2, -1
; %bb.239:
	s_or_b32 exec_lo, exec_lo, s6
	v_add_nc_u32_e32 v3, 0xffffff81, v12
	v_lshrrev_b32_e32 v12, 23, v0
	s_delay_alu instid0(VALU_DEP_3) | instskip(SKIP_1) | instid1(VALU_DEP_3)
	v_and_b32_e32 v2, 0xfffff, v2
	s_mov_b32 s2, exec_lo
	v_cndmask_b32_e64 v3, v3, 0xffffff82, vcc_lo
	s_delay_alu instid0(VALU_DEP_2) | instskip(SKIP_1) | instid1(VALU_DEP_3)
	v_add_co_u32 v0, vcc_lo, v2, v0
	v_add_co_ci_u32_e32 v1, vcc_lo, 0, v1, vcc_lo
	v_add3_u32 v3, v26, v3, v12
                                        ; implicit-def: $vgpr2
	s_delay_alu instid0(VALU_DEP_1) | instskip(NEXT) | instid1(VALU_DEP_1)
	v_add_nc_u32_e32 v12, 6, v3
	v_cmpx_ne_u32_e32 0, v12
	s_xor_b32 s2, exec_lo, s2
; %bb.240:
	v_cmp_lt_u64_e32 vcc_lo, 0xffffff, v[0:1]
	v_add_nc_u32_e32 v2, 7, v3
	v_cndmask_b32_e64 v3, 0, 1, vcc_lo
	s_delay_alu instid0(VALU_DEP_2) | instskip(NEXT) | instid1(VALU_DEP_2)
	v_cndmask_b32_e32 v2, v12, v2, vcc_lo
	v_lshrrev_b64 v[0:1], v3, v[0:1]
; %bb.241:
	s_and_not1_saveexec_b32 s2, s2
; %bb.242:
	s_delay_alu instid0(VALU_DEP_1)
	v_bfe_u32 v2, v0, 23, 1
; %bb.243:
	s_or_b32 exec_lo, exec_lo, s2
	s_delay_alu instid0(VALU_DEP_2) | instskip(NEXT) | instid1(VALU_DEP_2)
	v_lshrrev_b64 v[0:1], 20, v[0:1]
	v_cmp_gt_i32_e32 vcc_lo, 16, v2
	v_cmp_ne_u32_e64 s2, 0, v2
                                        ; implicit-def: $vgpr12
	s_delay_alu instid0(VALU_DEP_3) | instskip(NEXT) | instid1(VALU_DEP_1)
	v_dual_cndmask_b32 v1, 0, v1 :: v_dual_cndmask_b32 v0, 7, v0
	v_cmp_ne_u64_e32 vcc_lo, 0, v[0:1]
	s_delay_alu instid0(VALU_DEP_3) | instskip(NEXT) | instid1(SALU_CYCLE_1)
	s_or_b32 s2, s2, vcc_lo
	s_and_saveexec_b32 s6, s2
	s_delay_alu instid0(SALU_CYCLE_1)
	s_xor_b32 s2, exec_lo, s6
; %bb.244:
	v_min_i32_e32 v1, 15, v2
	s_delay_alu instid0(VALU_DEP_1) | instskip(NEXT) | instid1(VALU_DEP_1)
	v_lshl_or_b32 v1, v1, 3, v25
                                        ; implicit-def: $vgpr25
	v_and_or_b32 v12, v0, 7, v1
; %bb.245:
	s_and_not1_saveexec_b32 s2, s2
; %bb.246:
	v_mov_b32_e32 v12, v25
; %bb.247:
	s_or_b32 exec_lo, exec_lo, s2
.LBB13_248:
	s_delay_alu instid0(SALU_CYCLE_1)
	s_or_b32 exec_lo, exec_lo, s5
.LBB13_249:
	s_and_not1_saveexec_b32 s2, s4
	s_delay_alu instid0(SALU_CYCLE_1)
	s_or_b32 exec_lo, exec_lo, s2
                                        ; implicit-def: $vgpr3
                                        ; implicit-def: $vgpr0_vgpr1
.LBB13_250:
	s_and_not1_saveexec_b32 s2, s3
; %bb.251:
	v_cmp_eq_u64_e32 vcc_lo, 0, v[0:1]
	v_or_b32_e32 v2, 0x7f, v3
	s_delay_alu instid0(VALU_DEP_1)
	v_cndmask_b32_e32 v12, v2, v12, vcc_lo
; %bb.252:
	s_or_b32 exec_lo, exec_lo, s2
	v_dual_mul_f32 v0, v13, v24 :: v_dual_mov_b32 v1, 0
	s_mov_b32 s2, 0xc3e00000
	s_delay_alu instid0(VALU_DEP_1) | instid1(SALU_CYCLE_1)
	v_maxmin_f32 v2, v0, s2, 0x43e00000
	s_mov_b32 s2, exec_lo
	s_delay_alu instid0(VALU_DEP_2) | instskip(NEXT) | instid1(VALU_DEP_2)
	v_mov_b32_e32 v27, v1
	v_lshrrev_b32_e32 v3, 24, v2
	v_and_b32_e32 v26, 0x7f800000, v2
	v_and_b32_e32 v0, 0x7fffff, v2
	s_delay_alu instid0(VALU_DEP_3) | instskip(NEXT) | instid1(VALU_DEP_1)
	v_and_b32_e32 v25, 0x80, v3
	v_or_b32_e32 v13, 0x7e, v25
	s_delay_alu instid0(VALU_DEP_4)
	v_cmpx_ne_u64_e32 0x7f800000, v[26:27]
	s_xor_b32 s3, exec_lo, s2
	s_cbranch_execz .LBB13_268
; %bb.253:
	v_dual_mov_b32 v27, v1 :: v_dual_and_b32 v26, 0x7fffffff, v2
	s_mov_b32 s2, exec_lo
	s_delay_alu instid0(VALU_DEP_1)
	v_cmpx_gt_u64_e32 0x43e00001, v[26:27]
	s_xor_b32 s4, exec_lo, s2
	s_cbranch_execz .LBB13_267
; %bb.254:
	v_mov_b32_e32 v13, 0
	s_mov_b32 s5, exec_lo
	v_cmpx_ne_u32_e32 0, v2
	s_cbranch_execz .LBB13_266
; %bb.255:
	v_bfe_u32 v13, v2, 23, 8
	v_or_b32_e32 v27, 0x800000, v0
	s_delay_alu instid0(VALU_DEP_2) | instskip(SKIP_1) | instid1(VALU_DEP_2)
	v_sub_nc_u32_e32 v2, 0x79, v13
	v_cmp_gt_u32_e32 vcc_lo, 0x7a, v13
	v_cndmask_b32_e32 v2, 0, v2, vcc_lo
	v_cmp_eq_u32_e32 vcc_lo, 0, v13
	s_delay_alu instid0(VALU_DEP_2) | instskip(NEXT) | instid1(VALU_DEP_1)
	v_cndmask_b32_e64 v26, v2, 0x78, vcc_lo
	v_dual_cndmask_b32 v0, v27, v0 :: v_dual_add_nc_u32 v27, 19, v26
	v_add_nc_u32_e32 v2, 20, v26
	s_delay_alu instid0(VALU_DEP_1) | instskip(NEXT) | instid1(VALU_DEP_1)
	v_lshlrev_b64 v[2:3], v2, -1
	v_not_b32_e32 v29, v2
	s_delay_alu instid0(VALU_DEP_2) | instskip(SKIP_1) | instid1(VALU_DEP_3)
	v_not_b32_e32 v28, v3
	v_lshlrev_b64 v[2:3], v27, 1
	v_and_b32_e32 v27, v0, v29
	v_lshrrev_b64 v[0:1], v26, v[0:1]
	s_delay_alu instid0(VALU_DEP_4) | instskip(NEXT) | instid1(VALU_DEP_1)
	v_and_b32_e32 v28, 0, v28
	v_cmp_eq_u64_e64 s2, v[27:28], v[2:3]
	s_delay_alu instid0(VALU_DEP_3) | instskip(NEXT) | instid1(VALU_DEP_2)
	v_dual_mov_b32 v3, v1 :: v_dual_mov_b32 v2, v0
	s_and_saveexec_b32 s6, s2
; %bb.256:
	v_bfe_u32 v2, v0, 20, 1
	s_delay_alu instid0(VALU_DEP_1) | instskip(NEXT) | instid1(VALU_DEP_1)
	v_add_co_u32 v2, s2, v0, v2
	v_add_co_u32 v2, s2, v2, -1
; %bb.257:
	s_or_b32 exec_lo, exec_lo, s6
	v_add_nc_u32_e32 v3, 0xffffff81, v13
	v_lshrrev_b32_e32 v13, 23, v0
	s_delay_alu instid0(VALU_DEP_3) | instskip(SKIP_1) | instid1(VALU_DEP_3)
	v_and_b32_e32 v2, 0xfffff, v2
	s_mov_b32 s2, exec_lo
	v_cndmask_b32_e64 v3, v3, 0xffffff82, vcc_lo
	s_delay_alu instid0(VALU_DEP_2) | instskip(SKIP_1) | instid1(VALU_DEP_3)
	v_add_co_u32 v0, vcc_lo, v2, v0
	v_add_co_ci_u32_e32 v1, vcc_lo, 0, v1, vcc_lo
	v_add3_u32 v3, v26, v3, v13
                                        ; implicit-def: $vgpr2
	s_delay_alu instid0(VALU_DEP_1) | instskip(NEXT) | instid1(VALU_DEP_1)
	v_add_nc_u32_e32 v13, 6, v3
	v_cmpx_ne_u32_e32 0, v13
	s_xor_b32 s2, exec_lo, s2
; %bb.258:
	v_cmp_lt_u64_e32 vcc_lo, 0xffffff, v[0:1]
	v_add_nc_u32_e32 v2, 7, v3
	v_cndmask_b32_e64 v3, 0, 1, vcc_lo
	s_delay_alu instid0(VALU_DEP_2) | instskip(NEXT) | instid1(VALU_DEP_2)
	v_cndmask_b32_e32 v2, v13, v2, vcc_lo
	v_lshrrev_b64 v[0:1], v3, v[0:1]
; %bb.259:
	s_and_not1_saveexec_b32 s2, s2
; %bb.260:
	s_delay_alu instid0(VALU_DEP_1)
	v_bfe_u32 v2, v0, 23, 1
; %bb.261:
	s_or_b32 exec_lo, exec_lo, s2
	s_delay_alu instid0(VALU_DEP_2) | instskip(NEXT) | instid1(VALU_DEP_2)
	v_lshrrev_b64 v[0:1], 20, v[0:1]
	v_cmp_gt_i32_e32 vcc_lo, 16, v2
	v_cmp_ne_u32_e64 s2, 0, v2
                                        ; implicit-def: $vgpr13
	s_delay_alu instid0(VALU_DEP_3) | instskip(NEXT) | instid1(VALU_DEP_1)
	v_dual_cndmask_b32 v1, 0, v1 :: v_dual_cndmask_b32 v0, 7, v0
	v_cmp_ne_u64_e32 vcc_lo, 0, v[0:1]
	s_delay_alu instid0(VALU_DEP_3) | instskip(NEXT) | instid1(SALU_CYCLE_1)
	s_or_b32 s2, s2, vcc_lo
	s_and_saveexec_b32 s6, s2
	s_delay_alu instid0(SALU_CYCLE_1)
	s_xor_b32 s2, exec_lo, s6
; %bb.262:
	v_min_i32_e32 v1, 15, v2
	s_delay_alu instid0(VALU_DEP_1) | instskip(NEXT) | instid1(VALU_DEP_1)
	v_lshl_or_b32 v1, v1, 3, v25
                                        ; implicit-def: $vgpr25
	v_and_or_b32 v13, v0, 7, v1
; %bb.263:
	s_and_not1_saveexec_b32 s2, s2
; %bb.264:
	v_mov_b32_e32 v13, v25
; %bb.265:
	s_or_b32 exec_lo, exec_lo, s2
.LBB13_266:
	s_delay_alu instid0(SALU_CYCLE_1)
	s_or_b32 exec_lo, exec_lo, s5
.LBB13_267:
	s_and_not1_saveexec_b32 s2, s4
	s_delay_alu instid0(SALU_CYCLE_1)
	s_or_b32 exec_lo, exec_lo, s2
                                        ; implicit-def: $vgpr3
                                        ; implicit-def: $vgpr0_vgpr1
.LBB13_268:
	s_and_not1_saveexec_b32 s2, s3
; %bb.269:
	v_cmp_eq_u64_e32 vcc_lo, 0, v[0:1]
	v_or_b32_e32 v2, 0x7f, v3
	s_delay_alu instid0(VALU_DEP_1)
	v_cndmask_b32_e32 v13, v2, v13, vcc_lo
; %bb.270:
	s_or_b32 exec_lo, exec_lo, s2
	v_dual_mul_f32 v0, v14, v24 :: v_dual_mov_b32 v1, 0
	s_mov_b32 s2, 0xc3e00000
	s_delay_alu instid0(VALU_DEP_1) | instid1(SALU_CYCLE_1)
	v_maxmin_f32 v2, v0, s2, 0x43e00000
	s_mov_b32 s2, exec_lo
	s_delay_alu instid0(VALU_DEP_2) | instskip(NEXT) | instid1(VALU_DEP_2)
	v_mov_b32_e32 v27, v1
	v_lshrrev_b32_e32 v3, 24, v2
	v_and_b32_e32 v26, 0x7f800000, v2
	v_and_b32_e32 v0, 0x7fffff, v2
	s_delay_alu instid0(VALU_DEP_3) | instskip(NEXT) | instid1(VALU_DEP_1)
	v_and_b32_e32 v25, 0x80, v3
	v_or_b32_e32 v14, 0x7e, v25
	s_delay_alu instid0(VALU_DEP_4)
	v_cmpx_ne_u64_e32 0x7f800000, v[26:27]
	s_xor_b32 s3, exec_lo, s2
	s_cbranch_execz .LBB13_286
; %bb.271:
	v_dual_mov_b32 v27, v1 :: v_dual_and_b32 v26, 0x7fffffff, v2
	s_mov_b32 s2, exec_lo
	s_delay_alu instid0(VALU_DEP_1)
	v_cmpx_gt_u64_e32 0x43e00001, v[26:27]
	s_xor_b32 s4, exec_lo, s2
	s_cbranch_execz .LBB13_285
; %bb.272:
	v_mov_b32_e32 v14, 0
	s_mov_b32 s5, exec_lo
	v_cmpx_ne_u32_e32 0, v2
	s_cbranch_execz .LBB13_284
; %bb.273:
	v_bfe_u32 v14, v2, 23, 8
	v_or_b32_e32 v27, 0x800000, v0
	s_delay_alu instid0(VALU_DEP_2) | instskip(SKIP_1) | instid1(VALU_DEP_2)
	v_sub_nc_u32_e32 v2, 0x79, v14
	v_cmp_gt_u32_e32 vcc_lo, 0x7a, v14
	v_cndmask_b32_e32 v2, 0, v2, vcc_lo
	v_cmp_eq_u32_e32 vcc_lo, 0, v14
	s_delay_alu instid0(VALU_DEP_2) | instskip(NEXT) | instid1(VALU_DEP_1)
	v_cndmask_b32_e64 v26, v2, 0x78, vcc_lo
	v_dual_cndmask_b32 v0, v27, v0 :: v_dual_add_nc_u32 v27, 19, v26
	v_add_nc_u32_e32 v2, 20, v26
	s_delay_alu instid0(VALU_DEP_1) | instskip(NEXT) | instid1(VALU_DEP_1)
	v_lshlrev_b64 v[2:3], v2, -1
	v_not_b32_e32 v29, v2
	s_delay_alu instid0(VALU_DEP_2) | instskip(SKIP_1) | instid1(VALU_DEP_3)
	v_not_b32_e32 v28, v3
	v_lshlrev_b64 v[2:3], v27, 1
	v_and_b32_e32 v27, v0, v29
	v_lshrrev_b64 v[0:1], v26, v[0:1]
	s_delay_alu instid0(VALU_DEP_4) | instskip(NEXT) | instid1(VALU_DEP_1)
	v_and_b32_e32 v28, 0, v28
	v_cmp_eq_u64_e64 s2, v[27:28], v[2:3]
	s_delay_alu instid0(VALU_DEP_3) | instskip(NEXT) | instid1(VALU_DEP_2)
	v_dual_mov_b32 v3, v1 :: v_dual_mov_b32 v2, v0
	s_and_saveexec_b32 s6, s2
; %bb.274:
	v_bfe_u32 v2, v0, 20, 1
	s_delay_alu instid0(VALU_DEP_1) | instskip(NEXT) | instid1(VALU_DEP_1)
	v_add_co_u32 v2, s2, v0, v2
	v_add_co_u32 v2, s2, v2, -1
; %bb.275:
	s_or_b32 exec_lo, exec_lo, s6
	v_add_nc_u32_e32 v3, 0xffffff81, v14
	v_lshrrev_b32_e32 v14, 23, v0
	s_delay_alu instid0(VALU_DEP_3) | instskip(SKIP_1) | instid1(VALU_DEP_3)
	v_and_b32_e32 v2, 0xfffff, v2
	s_mov_b32 s2, exec_lo
	v_cndmask_b32_e64 v3, v3, 0xffffff82, vcc_lo
	s_delay_alu instid0(VALU_DEP_2) | instskip(SKIP_1) | instid1(VALU_DEP_3)
	v_add_co_u32 v0, vcc_lo, v2, v0
	v_add_co_ci_u32_e32 v1, vcc_lo, 0, v1, vcc_lo
	v_add3_u32 v3, v26, v3, v14
                                        ; implicit-def: $vgpr2
	s_delay_alu instid0(VALU_DEP_1) | instskip(NEXT) | instid1(VALU_DEP_1)
	v_add_nc_u32_e32 v14, 6, v3
	v_cmpx_ne_u32_e32 0, v14
	s_xor_b32 s2, exec_lo, s2
; %bb.276:
	v_cmp_lt_u64_e32 vcc_lo, 0xffffff, v[0:1]
	v_add_nc_u32_e32 v2, 7, v3
	v_cndmask_b32_e64 v3, 0, 1, vcc_lo
	s_delay_alu instid0(VALU_DEP_2) | instskip(NEXT) | instid1(VALU_DEP_2)
	v_cndmask_b32_e32 v2, v14, v2, vcc_lo
	v_lshrrev_b64 v[0:1], v3, v[0:1]
; %bb.277:
	s_and_not1_saveexec_b32 s2, s2
; %bb.278:
	s_delay_alu instid0(VALU_DEP_1)
	v_bfe_u32 v2, v0, 23, 1
; %bb.279:
	s_or_b32 exec_lo, exec_lo, s2
	s_delay_alu instid0(VALU_DEP_2) | instskip(NEXT) | instid1(VALU_DEP_2)
	v_lshrrev_b64 v[0:1], 20, v[0:1]
	v_cmp_gt_i32_e32 vcc_lo, 16, v2
	v_cmp_ne_u32_e64 s2, 0, v2
                                        ; implicit-def: $vgpr14
	s_delay_alu instid0(VALU_DEP_3) | instskip(NEXT) | instid1(VALU_DEP_1)
	v_dual_cndmask_b32 v1, 0, v1 :: v_dual_cndmask_b32 v0, 7, v0
	v_cmp_ne_u64_e32 vcc_lo, 0, v[0:1]
	s_delay_alu instid0(VALU_DEP_3) | instskip(NEXT) | instid1(SALU_CYCLE_1)
	s_or_b32 s2, s2, vcc_lo
	s_and_saveexec_b32 s6, s2
	s_delay_alu instid0(SALU_CYCLE_1)
	s_xor_b32 s2, exec_lo, s6
; %bb.280:
	v_min_i32_e32 v1, 15, v2
	s_delay_alu instid0(VALU_DEP_1) | instskip(NEXT) | instid1(VALU_DEP_1)
	v_lshl_or_b32 v1, v1, 3, v25
                                        ; implicit-def: $vgpr25
	v_and_or_b32 v14, v0, 7, v1
; %bb.281:
	s_and_not1_saveexec_b32 s2, s2
; %bb.282:
	v_mov_b32_e32 v14, v25
; %bb.283:
	s_or_b32 exec_lo, exec_lo, s2
.LBB13_284:
	s_delay_alu instid0(SALU_CYCLE_1)
	s_or_b32 exec_lo, exec_lo, s5
.LBB13_285:
	s_and_not1_saveexec_b32 s2, s4
	s_delay_alu instid0(SALU_CYCLE_1)
	s_or_b32 exec_lo, exec_lo, s2
                                        ; implicit-def: $vgpr3
                                        ; implicit-def: $vgpr0_vgpr1
.LBB13_286:
	s_and_not1_saveexec_b32 s2, s3
; %bb.287:
	v_cmp_eq_u64_e32 vcc_lo, 0, v[0:1]
	v_or_b32_e32 v2, 0x7f, v3
	s_delay_alu instid0(VALU_DEP_1)
	v_cndmask_b32_e32 v14, v2, v14, vcc_lo
; %bb.288:
	s_or_b32 exec_lo, exec_lo, s2
	v_dual_mul_f32 v0, v15, v24 :: v_dual_mov_b32 v1, 0
	s_mov_b32 s2, 0xc3e00000
	s_delay_alu instid0(VALU_DEP_1) | instid1(SALU_CYCLE_1)
	v_maxmin_f32 v3, v0, s2, 0x43e00000
	s_mov_b32 s2, exec_lo
	s_delay_alu instid0(VALU_DEP_2) | instskip(NEXT) | instid1(VALU_DEP_2)
	v_mov_b32_e32 v26, v1
	v_lshrrev_b32_e32 v24, 24, v3
	v_and_b32_e32 v25, 0x7f800000, v3
	v_and_b32_e32 v0, 0x7fffff, v3
	s_delay_alu instid0(VALU_DEP_3) | instskip(NEXT) | instid1(VALU_DEP_1)
	v_and_b32_e32 v15, 0x80, v24
	v_or_b32_e32 v2, 0x7e, v15
	s_delay_alu instid0(VALU_DEP_4)
	v_cmpx_ne_u64_e32 0x7f800000, v[25:26]
	s_xor_b32 s3, exec_lo, s2
	s_cbranch_execz .LBB13_304
; %bb.289:
	v_dual_mov_b32 v25, v1 :: v_dual_and_b32 v24, 0x7fffffff, v3
	s_mov_b32 s2, exec_lo
	s_delay_alu instid0(VALU_DEP_1)
	v_cmpx_gt_u64_e32 0x43e00001, v[24:25]
	s_xor_b32 s4, exec_lo, s2
	s_cbranch_execz .LBB13_303
; %bb.290:
	v_mov_b32_e32 v2, 0
	s_mov_b32 s5, exec_lo
	v_cmpx_ne_u32_e32 0, v3
	s_cbranch_execz .LBB13_302
; %bb.291:
	v_bfe_u32 v24, v3, 23, 8
	v_or_b32_e32 v26, 0x800000, v0
	s_delay_alu instid0(VALU_DEP_2) | instskip(SKIP_1) | instid1(VALU_DEP_2)
	v_sub_nc_u32_e32 v2, 0x79, v24
	v_cmp_gt_u32_e32 vcc_lo, 0x7a, v24
	v_cndmask_b32_e32 v2, 0, v2, vcc_lo
	v_cmp_eq_u32_e32 vcc_lo, 0, v24
	s_delay_alu instid0(VALU_DEP_2) | instskip(SKIP_1) | instid1(VALU_DEP_2)
	v_cndmask_b32_e64 v25, v2, 0x78, vcc_lo
	v_cndmask_b32_e32 v0, v26, v0, vcc_lo
	v_add_nc_u32_e32 v2, 20, v25
	v_add_nc_u32_e32 v26, 19, v25
	s_delay_alu instid0(VALU_DEP_2) | instskip(NEXT) | instid1(VALU_DEP_1)
	v_lshlrev_b64 v[2:3], v2, -1
	v_not_b32_e32 v28, v2
	s_delay_alu instid0(VALU_DEP_2) | instskip(NEXT) | instid1(VALU_DEP_4)
	v_not_b32_e32 v27, v3
	v_lshlrev_b64 v[2:3], v26, 1
	s_delay_alu instid0(VALU_DEP_3) | instskip(SKIP_1) | instid1(VALU_DEP_4)
	v_and_b32_e32 v26, v0, v28
	v_lshrrev_b64 v[0:1], v25, v[0:1]
	v_and_b32_e32 v27, 0, v27
	s_delay_alu instid0(VALU_DEP_1) | instskip(NEXT) | instid1(VALU_DEP_3)
	v_cmp_eq_u64_e64 s2, v[26:27], v[2:3]
	v_dual_mov_b32 v3, v1 :: v_dual_mov_b32 v2, v0
	s_delay_alu instid0(VALU_DEP_2)
	s_and_saveexec_b32 s6, s2
; %bb.292:
	v_bfe_u32 v2, v0, 20, 1
	s_delay_alu instid0(VALU_DEP_1) | instskip(NEXT) | instid1(VALU_DEP_1)
	v_add_co_u32 v2, s2, v0, v2
	v_add_co_u32 v2, s2, v2, -1
; %bb.293:
	s_or_b32 exec_lo, exec_lo, s6
	v_add_nc_u32_e32 v3, 0xffffff81, v24
	v_lshrrev_b32_e32 v24, 23, v0
	s_mov_b32 s2, exec_lo
	s_delay_alu instid0(VALU_DEP_2) | instskip(NEXT) | instid1(VALU_DEP_1)
	v_cndmask_b32_e64 v3, v3, 0xffffff82, vcc_lo
	v_add3_u32 v24, v25, v3, v24
	v_and_b32_e32 v3, 0xfffff, v2
	s_delay_alu instid0(VALU_DEP_2) | instskip(NEXT) | instid1(VALU_DEP_2)
	v_add_nc_u32_e32 v2, 6, v24
	v_add_co_u32 v0, vcc_lo, v3, v0
	v_add_co_ci_u32_e32 v1, vcc_lo, 0, v1, vcc_lo
                                        ; implicit-def: $vgpr3
	s_delay_alu instid0(VALU_DEP_3)
	v_cmpx_ne_u32_e32 0, v2
	s_xor_b32 s2, exec_lo, s2
; %bb.294:
	s_delay_alu instid0(VALU_DEP_2) | instskip(SKIP_1) | instid1(VALU_DEP_1)
	v_cmp_lt_u64_e32 vcc_lo, 0xffffff, v[0:1]
	v_add_nc_u32_e32 v3, 7, v24
	v_cndmask_b32_e32 v3, v2, v3, vcc_lo
	v_cndmask_b32_e64 v2, 0, 1, vcc_lo
	s_delay_alu instid0(VALU_DEP_1)
	v_lshrrev_b64 v[0:1], v2, v[0:1]
; %bb.295:
	s_and_not1_saveexec_b32 s2, s2
; %bb.296:
	s_delay_alu instid0(VALU_DEP_1)
	v_bfe_u32 v3, v0, 23, 1
; %bb.297:
	s_or_b32 exec_lo, exec_lo, s2
	s_delay_alu instid0(VALU_DEP_2) | instskip(NEXT) | instid1(VALU_DEP_2)
	v_lshrrev_b64 v[0:1], 20, v[0:1]
	v_cmp_gt_i32_e32 vcc_lo, 16, v3
	v_cmp_ne_u32_e64 s2, 0, v3
                                        ; implicit-def: $vgpr2
	s_delay_alu instid0(VALU_DEP_3) | instskip(NEXT) | instid1(VALU_DEP_1)
	v_dual_cndmask_b32 v1, 0, v1 :: v_dual_cndmask_b32 v0, 7, v0
	v_cmp_ne_u64_e32 vcc_lo, 0, v[0:1]
	s_delay_alu instid0(VALU_DEP_3) | instskip(NEXT) | instid1(SALU_CYCLE_1)
	s_or_b32 s2, s2, vcc_lo
	s_and_saveexec_b32 s6, s2
	s_delay_alu instid0(SALU_CYCLE_1)
	s_xor_b32 s2, exec_lo, s6
; %bb.298:
	v_min_i32_e32 v1, 15, v3
	s_delay_alu instid0(VALU_DEP_1) | instskip(NEXT) | instid1(VALU_DEP_1)
	v_lshl_or_b32 v1, v1, 3, v15
                                        ; implicit-def: $vgpr15
	v_and_or_b32 v2, v0, 7, v1
; %bb.299:
	s_and_not1_saveexec_b32 s2, s2
; %bb.300:
	v_mov_b32_e32 v2, v15
; %bb.301:
	s_or_b32 exec_lo, exec_lo, s2
.LBB13_302:
	s_delay_alu instid0(SALU_CYCLE_1)
	s_or_b32 exec_lo, exec_lo, s5
.LBB13_303:
	s_and_not1_saveexec_b32 s2, s4
	s_delay_alu instid0(SALU_CYCLE_1)
	s_or_b32 exec_lo, exec_lo, s2
                                        ; implicit-def: $vgpr24
                                        ; implicit-def: $vgpr0_vgpr1
.LBB13_304:
	s_or_saveexec_b32 s4, s3
	s_load_b64 s[2:3], s[0:1], 0x28
	s_xor_b32 exec_lo, exec_lo, s4
; %bb.305:
	v_cmp_eq_u64_e32 vcc_lo, 0, v[0:1]
	v_or_b32_e32 v3, 0x7f, v24
	s_delay_alu instid0(VALU_DEP_1)
	v_cndmask_b32_e32 v2, v3, v2, vcc_lo
; %bb.306:
	s_or_b32 exec_lo, exec_lo, s4
	s_load_b128 s[4:7], s[0:1], 0x70
	v_lshlrev_b16 v3, 8, v23
	v_and_b32_e32 v22, 0xff, v22
	v_lshlrev_b16 v5, 8, v5
	v_and_b32_e32 v4, 0xff, v4
	v_mul_lo_u32 v15, v19, s10
	v_mul_lo_u32 v24, v18, s13
	v_mad_u64_u32 v[0:1], null, v18, s10, 0
	v_or_b32_e32 v22, v22, v3
	v_or_b32_e32 v5, v4, v5
	v_lshlrev_b16 v21, 8, v21
	v_and_b32_e32 v20, 0xff, v20
	v_lshlrev_b16 v7, 8, v7
	v_and_b32_e32 v6, 0xff, v6
	v_add3_u32 v1, v1, v24, v15
	v_sub_co_u32 v0, vcc_lo, v16, v0
	v_or_b32_e32 v20, v20, v21
	v_lshlrev_b16 v2, 8, v2
	s_waitcnt lgkmcnt(0)
	v_mad_u64_u32 v[3:4], null, v18, s4, s[2:3]
	v_mul_lo_u32 v18, v18, s5
	v_mul_lo_u32 v19, v19, s4
	v_sub_co_ci_u32_e32 v1, vcc_lo, v17, v1, vcc_lo
	v_lshlrev_b32_e32 v16, 16, v20
	v_mul_lo_u32 v17, v0, s7
	v_or_b32_e32 v6, v6, v7
	s_delay_alu instid0(VALU_DEP_4)
	v_mul_lo_u32 v1, v1, s6
	v_and_b32_e32 v15, 0xffff, v22
	v_add3_u32 v4, v19, v4, v18
	v_and_b32_e32 v5, 0xffff, v5
	v_lshlrev_b32_e32 v6, 16, v6
	s_mov_b32 s8, exec_lo
	v_or_b32_e32 v16, v15, v16
	v_mad_u64_u32 v[20:21], null, v0, s6, v[3:4]
	v_lshlrev_b16 v0, 8, v9
	v_and_b32_e32 v3, 0xff, v8
	v_lshlrev_b16 v4, 8, v11
	v_and_b32_e32 v8, 0xff, v10
	;; [unrolled: 2-line block ×3, first 2 shown]
	v_and_b32_e32 v11, 0xff, v14
	v_or_b32_e32 v0, v3, v0
	v_or_b32_e32 v3, v8, v4
	v_add3_u32 v21, v1, v21, v17
	v_or_b32_e32 v4, v10, v9
	v_or_b32_e32 v2, v11, v2
	v_and_b32_e32 v0, 0xffff, v0
	v_lshlrev_b32_e32 v3, 16, v3
	v_or_b32_e32 v17, v5, v6
	v_and_b32_e32 v4, 0xffff, v4
	v_lshlrev_b32_e32 v2, 16, v2
	s_delay_alu instid0(VALU_DEP_4) | instskip(NEXT) | instid1(VALU_DEP_2)
	v_or_b32_e32 v18, v0, v3
	v_or_b32_e32 v19, v4, v2
.LBB13_307:
	s_or_b32 exec_lo, exec_lo, s12
	s_delay_alu instid0(SALU_CYCLE_1)
	s_and_b32 s6, s8, exec_lo
                                        ; implicit-def: $vgpr33_vgpr34
                                        ; implicit-def: $vgpr31
                                        ; implicit-def: $vgpr0_vgpr1_vgpr2_vgpr3_vgpr4_vgpr5_vgpr6_vgpr7_vgpr8_vgpr9_vgpr10_vgpr11_vgpr12_vgpr13_vgpr14_vgpr15
	s_and_not1_saveexec_b32 s7, s11
	s_cbranch_execz .LBB13_10
.LBB13_308:
	s_load_b64 s[2:3], s[0:1], 0x50
	v_mov_b32_e32 v17, 0
	s_delay_alu instid0(VALU_DEP_1)
	v_mov_b32_e32 v22, v17
	s_waitcnt lgkmcnt(0)
	s_load_b32 s3, s[2:3], 0x0
	s_mov_b32 s2, 0xc3e00000
	s_waitcnt lgkmcnt(0)
	v_mul_f32_e32 v0, s3, v0
	s_delay_alu instid0(VALU_DEP_1) | instskip(SKIP_1) | instid1(VALU_DEP_1)
	v_maxmin_f32 v19, v0, s2, 0x43e00000
	s_mov_b32 s2, exec_lo
	v_lshrrev_b32_e32 v20, 24, v19
	v_and_b32_e32 v21, 0x7f800000, v19
	v_and_b32_e32 v16, 0x7fffff, v19
	s_delay_alu instid0(VALU_DEP_3) | instskip(NEXT) | instid1(VALU_DEP_1)
	v_and_b32_e32 v0, 0x80, v20
	v_or_b32_e32 v18, 0x7e, v0
	s_delay_alu instid0(VALU_DEP_4)
	v_cmpx_ne_u64_e32 0x7f800000, v[21:22]
	s_xor_b32 s4, exec_lo, s2
	s_cbranch_execz .LBB13_324
; %bb.309:
	v_dual_mov_b32 v21, v17 :: v_dual_and_b32 v20, 0x7fffffff, v19
	s_mov_b32 s2, exec_lo
	s_delay_alu instid0(VALU_DEP_1)
	v_cmpx_gt_u64_e32 0x43e00001, v[20:21]
	s_xor_b32 s5, exec_lo, s2
	s_cbranch_execz .LBB13_323
; %bb.310:
	v_mov_b32_e32 v18, 0
	s_mov_b32 s8, exec_lo
	v_cmpx_ne_u32_e32 0, v19
	s_cbranch_execz .LBB13_322
; %bb.311:
	v_bfe_u32 v20, v19, 23, 8
	v_or_b32_e32 v22, 0x800000, v16
	s_delay_alu instid0(VALU_DEP_2) | instskip(SKIP_1) | instid1(VALU_DEP_2)
	v_sub_nc_u32_e32 v18, 0x79, v20
	v_cmp_gt_u32_e32 vcc_lo, 0x7a, v20
	v_cndmask_b32_e32 v18, 0, v18, vcc_lo
	v_cmp_eq_u32_e32 vcc_lo, 0, v20
	s_delay_alu instid0(VALU_DEP_2) | instskip(SKIP_1) | instid1(VALU_DEP_2)
	v_cndmask_b32_e64 v21, v18, 0x78, vcc_lo
	v_cndmask_b32_e32 v16, v22, v16, vcc_lo
	v_add_nc_u32_e32 v18, 20, v21
	v_add_nc_u32_e32 v22, 19, v21
	s_delay_alu instid0(VALU_DEP_2) | instskip(NEXT) | instid1(VALU_DEP_1)
	v_lshlrev_b64 v[18:19], v18, -1
	v_not_b32_e32 v24, v18
	s_delay_alu instid0(VALU_DEP_2) | instskip(NEXT) | instid1(VALU_DEP_4)
	v_not_b32_e32 v23, v19
	v_lshlrev_b64 v[18:19], v22, 1
	s_delay_alu instid0(VALU_DEP_3) | instskip(SKIP_1) | instid1(VALU_DEP_4)
	v_and_b32_e32 v22, v16, v24
	v_lshrrev_b64 v[16:17], v21, v[16:17]
	v_and_b32_e32 v23, 0, v23
	s_delay_alu instid0(VALU_DEP_1) | instskip(NEXT) | instid1(VALU_DEP_3)
	v_cmp_eq_u64_e64 s2, v[22:23], v[18:19]
	v_dual_mov_b32 v19, v17 :: v_dual_mov_b32 v18, v16
	s_delay_alu instid0(VALU_DEP_2)
	s_and_saveexec_b32 s9, s2
; %bb.312:
	v_bfe_u32 v18, v16, 20, 1
	s_delay_alu instid0(VALU_DEP_1) | instskip(NEXT) | instid1(VALU_DEP_1)
	v_add_co_u32 v18, s2, v16, v18
	v_add_co_u32 v18, s2, v18, -1
; %bb.313:
	s_or_b32 exec_lo, exec_lo, s9
	v_add_nc_u32_e32 v19, 0xffffff81, v20
	v_lshrrev_b32_e32 v20, 23, v16
	s_mov_b32 s2, exec_lo
	s_delay_alu instid0(VALU_DEP_2) | instskip(NEXT) | instid1(VALU_DEP_1)
	v_cndmask_b32_e64 v19, v19, 0xffffff82, vcc_lo
	v_add3_u32 v20, v21, v19, v20
	v_and_b32_e32 v19, 0xfffff, v18
	s_delay_alu instid0(VALU_DEP_2) | instskip(NEXT) | instid1(VALU_DEP_2)
	v_add_nc_u32_e32 v18, 6, v20
	v_add_co_u32 v16, vcc_lo, v19, v16
	v_add_co_ci_u32_e32 v17, vcc_lo, 0, v17, vcc_lo
                                        ; implicit-def: $vgpr19
	s_delay_alu instid0(VALU_DEP_3)
	v_cmpx_ne_u32_e32 0, v18
	s_xor_b32 s2, exec_lo, s2
; %bb.314:
	s_delay_alu instid0(VALU_DEP_2) | instskip(SKIP_1) | instid1(VALU_DEP_1)
	v_cmp_lt_u64_e32 vcc_lo, 0xffffff, v[16:17]
	v_add_nc_u32_e32 v19, 7, v20
	v_cndmask_b32_e32 v19, v18, v19, vcc_lo
	v_cndmask_b32_e64 v18, 0, 1, vcc_lo
	s_delay_alu instid0(VALU_DEP_1)
	v_lshrrev_b64 v[16:17], v18, v[16:17]
; %bb.315:
	s_and_not1_saveexec_b32 s2, s2
; %bb.316:
	s_delay_alu instid0(VALU_DEP_1)
	v_bfe_u32 v19, v16, 23, 1
; %bb.317:
	s_or_b32 exec_lo, exec_lo, s2
	s_delay_alu instid0(VALU_DEP_2) | instskip(NEXT) | instid1(VALU_DEP_2)
	v_lshrrev_b64 v[16:17], 20, v[16:17]
	v_cmp_gt_i32_e32 vcc_lo, 16, v19
	v_cmp_ne_u32_e64 s2, 0, v19
                                        ; implicit-def: $vgpr18
	s_delay_alu instid0(VALU_DEP_3) | instskip(NEXT) | instid1(VALU_DEP_1)
	v_dual_cndmask_b32 v17, 0, v17 :: v_dual_cndmask_b32 v16, 7, v16
	v_cmp_ne_u64_e32 vcc_lo, 0, v[16:17]
	s_delay_alu instid0(VALU_DEP_3) | instskip(NEXT) | instid1(SALU_CYCLE_1)
	s_or_b32 s2, s2, vcc_lo
	s_and_saveexec_b32 s9, s2
	s_delay_alu instid0(SALU_CYCLE_1)
	s_xor_b32 s2, exec_lo, s9
; %bb.318:
	v_min_i32_e32 v17, 15, v19
	s_delay_alu instid0(VALU_DEP_1) | instskip(NEXT) | instid1(VALU_DEP_1)
	v_lshl_or_b32 v0, v17, 3, v0
	v_and_or_b32 v18, v16, 7, v0
                                        ; implicit-def: $vgpr0
; %bb.319:
	s_and_not1_saveexec_b32 s2, s2
; %bb.320:
	v_mov_b32_e32 v18, v0
; %bb.321:
	s_or_b32 exec_lo, exec_lo, s2
.LBB13_322:
	s_delay_alu instid0(SALU_CYCLE_1)
	s_or_b32 exec_lo, exec_lo, s8
.LBB13_323:
	s_and_not1_saveexec_b32 s2, s5
	s_delay_alu instid0(SALU_CYCLE_1)
	s_or_b32 exec_lo, exec_lo, s2
                                        ; implicit-def: $vgpr20
                                        ; implicit-def: $vgpr16_vgpr17
.LBB13_324:
	s_and_not1_saveexec_b32 s2, s4
; %bb.325:
	v_cmp_eq_u64_e32 vcc_lo, 0, v[16:17]
	v_or_b32_e32 v0, 0x7f, v20
	s_delay_alu instid0(VALU_DEP_1)
	v_cndmask_b32_e32 v18, v0, v18, vcc_lo
; %bb.326:
	s_or_b32 exec_lo, exec_lo, s2
	v_dual_mul_f32 v0, s3, v1 :: v_dual_mov_b32 v1, 0
	s_mov_b32 s2, 0xc3e00000
	s_delay_alu instid0(VALU_DEP_1) | instid1(SALU_CYCLE_1)
	v_maxmin_f32 v16, v0, s2, 0x43e00000
	s_mov_b32 s2, exec_lo
	s_delay_alu instid0(VALU_DEP_2) | instskip(NEXT) | instid1(VALU_DEP_2)
	v_mov_b32_e32 v22, v1
	v_lshrrev_b32_e32 v17, 24, v16
	v_and_b32_e32 v21, 0x7f800000, v16
	v_and_b32_e32 v0, 0x7fffff, v16
	s_delay_alu instid0(VALU_DEP_3) | instskip(NEXT) | instid1(VALU_DEP_1)
	v_and_b32_e32 v20, 0x80, v17
	v_or_b32_e32 v19, 0x7e, v20
	s_delay_alu instid0(VALU_DEP_4)
	v_cmpx_ne_u64_e32 0x7f800000, v[21:22]
	s_xor_b32 s4, exec_lo, s2
	s_cbranch_execz .LBB13_342
; %bb.327:
	v_dual_mov_b32 v22, v1 :: v_dual_and_b32 v21, 0x7fffffff, v16
	s_mov_b32 s2, exec_lo
	s_delay_alu instid0(VALU_DEP_1)
	v_cmpx_gt_u64_e32 0x43e00001, v[21:22]
	s_xor_b32 s5, exec_lo, s2
	s_cbranch_execz .LBB13_341
; %bb.328:
	v_mov_b32_e32 v19, 0
	s_mov_b32 s8, exec_lo
	v_cmpx_ne_u32_e32 0, v16
	s_cbranch_execz .LBB13_340
; %bb.329:
	v_bfe_u32 v19, v16, 23, 8
	v_or_b32_e32 v22, 0x800000, v0
	s_delay_alu instid0(VALU_DEP_2) | instskip(SKIP_1) | instid1(VALU_DEP_2)
	v_sub_nc_u32_e32 v16, 0x79, v19
	v_cmp_gt_u32_e32 vcc_lo, 0x7a, v19
	v_cndmask_b32_e32 v16, 0, v16, vcc_lo
	v_cmp_eq_u32_e32 vcc_lo, 0, v19
	s_delay_alu instid0(VALU_DEP_2) | instskip(SKIP_1) | instid1(VALU_DEP_2)
	v_cndmask_b32_e64 v21, v16, 0x78, vcc_lo
	v_cndmask_b32_e32 v0, v22, v0, vcc_lo
	v_add_nc_u32_e32 v16, 20, v21
	v_add_nc_u32_e32 v22, 19, v21
	s_delay_alu instid0(VALU_DEP_2) | instskip(NEXT) | instid1(VALU_DEP_1)
	v_lshlrev_b64 v[16:17], v16, -1
	v_not_b32_e32 v24, v16
	s_delay_alu instid0(VALU_DEP_2) | instskip(NEXT) | instid1(VALU_DEP_4)
	v_not_b32_e32 v23, v17
	v_lshlrev_b64 v[16:17], v22, 1
	s_delay_alu instid0(VALU_DEP_3) | instskip(SKIP_1) | instid1(VALU_DEP_4)
	v_and_b32_e32 v22, v0, v24
	v_lshrrev_b64 v[0:1], v21, v[0:1]
	v_and_b32_e32 v23, 0, v23
	s_delay_alu instid0(VALU_DEP_1) | instskip(NEXT) | instid1(VALU_DEP_3)
	v_cmp_eq_u64_e64 s2, v[22:23], v[16:17]
	v_dual_mov_b32 v17, v1 :: v_dual_mov_b32 v16, v0
	s_delay_alu instid0(VALU_DEP_2)
	s_and_saveexec_b32 s9, s2
; %bb.330:
	v_bfe_u32 v16, v0, 20, 1
	s_delay_alu instid0(VALU_DEP_1) | instskip(NEXT) | instid1(VALU_DEP_1)
	v_add_co_u32 v16, s2, v0, v16
	v_add_co_u32 v16, s2, v16, -1
; %bb.331:
	s_or_b32 exec_lo, exec_lo, s9
	v_add_nc_u32_e32 v17, 0xffffff81, v19
	v_lshrrev_b32_e32 v19, 23, v0
	s_delay_alu instid0(VALU_DEP_3) | instskip(SKIP_1) | instid1(VALU_DEP_3)
	v_and_b32_e32 v16, 0xfffff, v16
	s_mov_b32 s2, exec_lo
	v_cndmask_b32_e64 v17, v17, 0xffffff82, vcc_lo
	s_delay_alu instid0(VALU_DEP_2) | instskip(SKIP_1) | instid1(VALU_DEP_3)
	v_add_co_u32 v0, vcc_lo, v16, v0
	v_add_co_ci_u32_e32 v1, vcc_lo, 0, v1, vcc_lo
	v_add3_u32 v17, v21, v17, v19
                                        ; implicit-def: $vgpr16
	s_delay_alu instid0(VALU_DEP_1) | instskip(NEXT) | instid1(VALU_DEP_1)
	v_add_nc_u32_e32 v19, 6, v17
	v_cmpx_ne_u32_e32 0, v19
	s_xor_b32 s2, exec_lo, s2
; %bb.332:
	v_cmp_lt_u64_e32 vcc_lo, 0xffffff, v[0:1]
	v_add_nc_u32_e32 v16, 7, v17
	v_cndmask_b32_e64 v17, 0, 1, vcc_lo
	s_delay_alu instid0(VALU_DEP_2) | instskip(NEXT) | instid1(VALU_DEP_2)
	v_cndmask_b32_e32 v16, v19, v16, vcc_lo
	v_lshrrev_b64 v[0:1], v17, v[0:1]
; %bb.333:
	s_and_not1_saveexec_b32 s2, s2
; %bb.334:
	s_delay_alu instid0(VALU_DEP_1)
	v_bfe_u32 v16, v0, 23, 1
; %bb.335:
	s_or_b32 exec_lo, exec_lo, s2
	s_delay_alu instid0(VALU_DEP_2) | instskip(NEXT) | instid1(VALU_DEP_2)
	v_lshrrev_b64 v[0:1], 20, v[0:1]
	v_cmp_gt_i32_e32 vcc_lo, 16, v16
	v_cmp_ne_u32_e64 s2, 0, v16
                                        ; implicit-def: $vgpr19
	s_delay_alu instid0(VALU_DEP_3) | instskip(NEXT) | instid1(VALU_DEP_1)
	v_dual_cndmask_b32 v1, 0, v1 :: v_dual_cndmask_b32 v0, 7, v0
	v_cmp_ne_u64_e32 vcc_lo, 0, v[0:1]
	s_delay_alu instid0(VALU_DEP_3) | instskip(NEXT) | instid1(SALU_CYCLE_1)
	s_or_b32 s2, s2, vcc_lo
	s_and_saveexec_b32 s9, s2
	s_delay_alu instid0(SALU_CYCLE_1)
	s_xor_b32 s2, exec_lo, s9
; %bb.336:
	v_min_i32_e32 v1, 15, v16
	s_delay_alu instid0(VALU_DEP_1) | instskip(NEXT) | instid1(VALU_DEP_1)
	v_lshl_or_b32 v1, v1, 3, v20
                                        ; implicit-def: $vgpr20
	v_and_or_b32 v19, v0, 7, v1
; %bb.337:
	s_and_not1_saveexec_b32 s2, s2
; %bb.338:
	v_mov_b32_e32 v19, v20
; %bb.339:
	s_or_b32 exec_lo, exec_lo, s2
.LBB13_340:
	s_delay_alu instid0(SALU_CYCLE_1)
	s_or_b32 exec_lo, exec_lo, s8
.LBB13_341:
	s_and_not1_saveexec_b32 s2, s5
	s_delay_alu instid0(SALU_CYCLE_1)
	s_or_b32 exec_lo, exec_lo, s2
                                        ; implicit-def: $vgpr17
                                        ; implicit-def: $vgpr0_vgpr1
.LBB13_342:
	s_and_not1_saveexec_b32 s2, s4
; %bb.343:
	v_cmp_eq_u64_e32 vcc_lo, 0, v[0:1]
	v_or_b32_e32 v16, 0x7f, v17
	s_delay_alu instid0(VALU_DEP_1)
	v_cndmask_b32_e32 v19, v16, v19, vcc_lo
; %bb.344:
	s_or_b32 exec_lo, exec_lo, s2
	v_dual_mul_f32 v0, s3, v2 :: v_dual_mov_b32 v1, 0
	s_mov_b32 s2, 0xc3e00000
	s_delay_alu instid0(VALU_DEP_1) | instid1(SALU_CYCLE_1)
	v_maxmin_f32 v17, v0, s2, 0x43e00000
	s_mov_b32 s2, exec_lo
	s_delay_alu instid0(VALU_DEP_2) | instskip(NEXT) | instid1(VALU_DEP_2)
	v_mov_b32_e32 v22, v1
	v_lshrrev_b32_e32 v20, 24, v17
	v_and_b32_e32 v21, 0x7f800000, v17
	v_and_b32_e32 v0, 0x7fffff, v17
	s_delay_alu instid0(VALU_DEP_3) | instskip(NEXT) | instid1(VALU_DEP_1)
	v_and_b32_e32 v2, 0x80, v20
	v_or_b32_e32 v16, 0x7e, v2
	s_delay_alu instid0(VALU_DEP_4)
	v_cmpx_ne_u64_e32 0x7f800000, v[21:22]
	s_xor_b32 s4, exec_lo, s2
	s_cbranch_execz .LBB13_360
; %bb.345:
	v_dual_mov_b32 v21, v1 :: v_dual_and_b32 v20, 0x7fffffff, v17
	s_mov_b32 s2, exec_lo
	s_delay_alu instid0(VALU_DEP_1)
	v_cmpx_gt_u64_e32 0x43e00001, v[20:21]
	s_xor_b32 s5, exec_lo, s2
	s_cbranch_execz .LBB13_359
; %bb.346:
	v_mov_b32_e32 v16, 0
	s_mov_b32 s8, exec_lo
	v_cmpx_ne_u32_e32 0, v17
	s_cbranch_execz .LBB13_358
; %bb.347:
	v_bfe_u32 v20, v17, 23, 8
	v_or_b32_e32 v22, 0x800000, v0
	s_delay_alu instid0(VALU_DEP_2) | instskip(SKIP_1) | instid1(VALU_DEP_2)
	v_sub_nc_u32_e32 v16, 0x79, v20
	v_cmp_gt_u32_e32 vcc_lo, 0x7a, v20
	v_cndmask_b32_e32 v16, 0, v16, vcc_lo
	v_cmp_eq_u32_e32 vcc_lo, 0, v20
	s_delay_alu instid0(VALU_DEP_2) | instskip(SKIP_1) | instid1(VALU_DEP_2)
	v_cndmask_b32_e64 v21, v16, 0x78, vcc_lo
	v_cndmask_b32_e32 v0, v22, v0, vcc_lo
	v_add_nc_u32_e32 v16, 20, v21
	v_add_nc_u32_e32 v22, 19, v21
	s_delay_alu instid0(VALU_DEP_2) | instskip(NEXT) | instid1(VALU_DEP_1)
	v_lshlrev_b64 v[16:17], v16, -1
	v_not_b32_e32 v24, v16
	s_delay_alu instid0(VALU_DEP_2) | instskip(NEXT) | instid1(VALU_DEP_4)
	v_not_b32_e32 v23, v17
	v_lshlrev_b64 v[16:17], v22, 1
	s_delay_alu instid0(VALU_DEP_3) | instskip(SKIP_1) | instid1(VALU_DEP_4)
	v_and_b32_e32 v22, v0, v24
	v_lshrrev_b64 v[0:1], v21, v[0:1]
	v_and_b32_e32 v23, 0, v23
	s_delay_alu instid0(VALU_DEP_1) | instskip(NEXT) | instid1(VALU_DEP_3)
	v_cmp_eq_u64_e64 s2, v[22:23], v[16:17]
	v_dual_mov_b32 v17, v1 :: v_dual_mov_b32 v16, v0
	s_delay_alu instid0(VALU_DEP_2)
	s_and_saveexec_b32 s9, s2
; %bb.348:
	v_bfe_u32 v16, v0, 20, 1
	s_delay_alu instid0(VALU_DEP_1) | instskip(NEXT) | instid1(VALU_DEP_1)
	v_add_co_u32 v16, s2, v0, v16
	v_add_co_u32 v16, s2, v16, -1
; %bb.349:
	s_or_b32 exec_lo, exec_lo, s9
	v_add_nc_u32_e32 v17, 0xffffff81, v20
	v_lshrrev_b32_e32 v20, 23, v0
	s_mov_b32 s2, exec_lo
	s_delay_alu instid0(VALU_DEP_2) | instskip(NEXT) | instid1(VALU_DEP_1)
	v_cndmask_b32_e64 v17, v17, 0xffffff82, vcc_lo
	v_add3_u32 v20, v21, v17, v20
	v_and_b32_e32 v17, 0xfffff, v16
	s_delay_alu instid0(VALU_DEP_2) | instskip(NEXT) | instid1(VALU_DEP_2)
	v_add_nc_u32_e32 v16, 6, v20
	v_add_co_u32 v0, vcc_lo, v17, v0
	v_add_co_ci_u32_e32 v1, vcc_lo, 0, v1, vcc_lo
                                        ; implicit-def: $vgpr17
	s_delay_alu instid0(VALU_DEP_3)
	v_cmpx_ne_u32_e32 0, v16
	s_xor_b32 s2, exec_lo, s2
; %bb.350:
	s_delay_alu instid0(VALU_DEP_2) | instskip(SKIP_1) | instid1(VALU_DEP_1)
	v_cmp_lt_u64_e32 vcc_lo, 0xffffff, v[0:1]
	v_add_nc_u32_e32 v17, 7, v20
	v_cndmask_b32_e32 v17, v16, v17, vcc_lo
	v_cndmask_b32_e64 v16, 0, 1, vcc_lo
	s_delay_alu instid0(VALU_DEP_1)
	v_lshrrev_b64 v[0:1], v16, v[0:1]
; %bb.351:
	s_and_not1_saveexec_b32 s2, s2
; %bb.352:
	s_delay_alu instid0(VALU_DEP_1)
	v_bfe_u32 v17, v0, 23, 1
; %bb.353:
	s_or_b32 exec_lo, exec_lo, s2
	s_delay_alu instid0(VALU_DEP_2) | instskip(NEXT) | instid1(VALU_DEP_2)
	v_lshrrev_b64 v[0:1], 20, v[0:1]
	v_cmp_gt_i32_e32 vcc_lo, 16, v17
	v_cmp_ne_u32_e64 s2, 0, v17
                                        ; implicit-def: $vgpr16
	s_delay_alu instid0(VALU_DEP_3) | instskip(NEXT) | instid1(VALU_DEP_1)
	v_dual_cndmask_b32 v1, 0, v1 :: v_dual_cndmask_b32 v0, 7, v0
	v_cmp_ne_u64_e32 vcc_lo, 0, v[0:1]
	s_delay_alu instid0(VALU_DEP_3) | instskip(NEXT) | instid1(SALU_CYCLE_1)
	s_or_b32 s2, s2, vcc_lo
	s_and_saveexec_b32 s9, s2
	s_delay_alu instid0(SALU_CYCLE_1)
	s_xor_b32 s2, exec_lo, s9
; %bb.354:
	v_min_i32_e32 v1, 15, v17
	s_delay_alu instid0(VALU_DEP_1) | instskip(NEXT) | instid1(VALU_DEP_1)
	v_lshl_or_b32 v1, v1, 3, v2
                                        ; implicit-def: $vgpr2
	v_and_or_b32 v16, v0, 7, v1
; %bb.355:
	s_and_not1_saveexec_b32 s2, s2
; %bb.356:
	v_mov_b32_e32 v16, v2
; %bb.357:
	s_or_b32 exec_lo, exec_lo, s2
.LBB13_358:
	s_delay_alu instid0(SALU_CYCLE_1)
	s_or_b32 exec_lo, exec_lo, s8
.LBB13_359:
	s_and_not1_saveexec_b32 s2, s5
	s_delay_alu instid0(SALU_CYCLE_1)
	s_or_b32 exec_lo, exec_lo, s2
                                        ; implicit-def: $vgpr20
                                        ; implicit-def: $vgpr0_vgpr1
.LBB13_360:
	s_and_not1_saveexec_b32 s2, s4
; %bb.361:
	v_cmp_eq_u64_e32 vcc_lo, 0, v[0:1]
	v_or_b32_e32 v2, 0x7f, v20
	s_delay_alu instid0(VALU_DEP_1)
	v_cndmask_b32_e32 v16, v2, v16, vcc_lo
; %bb.362:
	s_or_b32 exec_lo, exec_lo, s2
	v_dual_mul_f32 v0, s3, v3 :: v_dual_mov_b32 v1, 0
	s_mov_b32 s2, 0xc3e00000
	s_delay_alu instid0(VALU_DEP_1) | instid1(SALU_CYCLE_1)
	v_maxmin_f32 v2, v0, s2, 0x43e00000
	s_mov_b32 s2, exec_lo
	s_delay_alu instid0(VALU_DEP_2) | instskip(NEXT) | instid1(VALU_DEP_2)
	v_mov_b32_e32 v22, v1
	v_lshrrev_b32_e32 v3, 24, v2
	v_and_b32_e32 v21, 0x7f800000, v2
	v_and_b32_e32 v0, 0x7fffff, v2
	s_delay_alu instid0(VALU_DEP_3) | instskip(NEXT) | instid1(VALU_DEP_1)
	v_and_b32_e32 v20, 0x80, v3
	v_or_b32_e32 v17, 0x7e, v20
	s_delay_alu instid0(VALU_DEP_4)
	v_cmpx_ne_u64_e32 0x7f800000, v[21:22]
	s_xor_b32 s4, exec_lo, s2
	s_cbranch_execz .LBB13_378
; %bb.363:
	v_dual_mov_b32 v22, v1 :: v_dual_and_b32 v21, 0x7fffffff, v2
	s_mov_b32 s2, exec_lo
	s_delay_alu instid0(VALU_DEP_1)
	v_cmpx_gt_u64_e32 0x43e00001, v[21:22]
	s_xor_b32 s5, exec_lo, s2
	s_cbranch_execz .LBB13_377
; %bb.364:
	v_mov_b32_e32 v17, 0
	s_mov_b32 s8, exec_lo
	v_cmpx_ne_u32_e32 0, v2
	s_cbranch_execz .LBB13_376
; %bb.365:
	v_bfe_u32 v17, v2, 23, 8
	v_or_b32_e32 v22, 0x800000, v0
	s_delay_alu instid0(VALU_DEP_2) | instskip(SKIP_1) | instid1(VALU_DEP_2)
	v_sub_nc_u32_e32 v2, 0x79, v17
	v_cmp_gt_u32_e32 vcc_lo, 0x7a, v17
	v_cndmask_b32_e32 v2, 0, v2, vcc_lo
	v_cmp_eq_u32_e32 vcc_lo, 0, v17
	s_delay_alu instid0(VALU_DEP_2) | instskip(SKIP_1) | instid1(VALU_DEP_2)
	v_cndmask_b32_e64 v21, v2, 0x78, vcc_lo
	v_cndmask_b32_e32 v0, v22, v0, vcc_lo
	v_add_nc_u32_e32 v2, 20, v21
	v_add_nc_u32_e32 v22, 19, v21
	s_delay_alu instid0(VALU_DEP_2) | instskip(NEXT) | instid1(VALU_DEP_1)
	v_lshlrev_b64 v[2:3], v2, -1
	v_not_b32_e32 v24, v2
	s_delay_alu instid0(VALU_DEP_2) | instskip(NEXT) | instid1(VALU_DEP_4)
	v_not_b32_e32 v23, v3
	v_lshlrev_b64 v[2:3], v22, 1
	s_delay_alu instid0(VALU_DEP_3) | instskip(SKIP_1) | instid1(VALU_DEP_4)
	v_and_b32_e32 v22, v0, v24
	v_lshrrev_b64 v[0:1], v21, v[0:1]
	v_and_b32_e32 v23, 0, v23
	s_delay_alu instid0(VALU_DEP_1) | instskip(NEXT) | instid1(VALU_DEP_3)
	v_cmp_eq_u64_e64 s2, v[22:23], v[2:3]
	v_dual_mov_b32 v3, v1 :: v_dual_mov_b32 v2, v0
	s_delay_alu instid0(VALU_DEP_2)
	s_and_saveexec_b32 s9, s2
; %bb.366:
	v_bfe_u32 v2, v0, 20, 1
	s_delay_alu instid0(VALU_DEP_1) | instskip(NEXT) | instid1(VALU_DEP_1)
	v_add_co_u32 v2, s2, v0, v2
	v_add_co_u32 v2, s2, v2, -1
; %bb.367:
	s_or_b32 exec_lo, exec_lo, s9
	v_add_nc_u32_e32 v3, 0xffffff81, v17
	v_lshrrev_b32_e32 v17, 23, v0
	s_delay_alu instid0(VALU_DEP_3) | instskip(SKIP_1) | instid1(VALU_DEP_3)
	v_and_b32_e32 v2, 0xfffff, v2
	s_mov_b32 s2, exec_lo
	v_cndmask_b32_e64 v3, v3, 0xffffff82, vcc_lo
	s_delay_alu instid0(VALU_DEP_2) | instskip(SKIP_1) | instid1(VALU_DEP_3)
	v_add_co_u32 v0, vcc_lo, v2, v0
	v_add_co_ci_u32_e32 v1, vcc_lo, 0, v1, vcc_lo
	v_add3_u32 v3, v21, v3, v17
                                        ; implicit-def: $vgpr2
	s_delay_alu instid0(VALU_DEP_1) | instskip(NEXT) | instid1(VALU_DEP_1)
	v_add_nc_u32_e32 v17, 6, v3
	v_cmpx_ne_u32_e32 0, v17
	s_xor_b32 s2, exec_lo, s2
; %bb.368:
	v_cmp_lt_u64_e32 vcc_lo, 0xffffff, v[0:1]
	v_add_nc_u32_e32 v2, 7, v3
	v_cndmask_b32_e64 v3, 0, 1, vcc_lo
	s_delay_alu instid0(VALU_DEP_2) | instskip(NEXT) | instid1(VALU_DEP_2)
	v_cndmask_b32_e32 v2, v17, v2, vcc_lo
	v_lshrrev_b64 v[0:1], v3, v[0:1]
; %bb.369:
	s_and_not1_saveexec_b32 s2, s2
; %bb.370:
	s_delay_alu instid0(VALU_DEP_1)
	v_bfe_u32 v2, v0, 23, 1
; %bb.371:
	s_or_b32 exec_lo, exec_lo, s2
	s_delay_alu instid0(VALU_DEP_2) | instskip(NEXT) | instid1(VALU_DEP_2)
	v_lshrrev_b64 v[0:1], 20, v[0:1]
	v_cmp_gt_i32_e32 vcc_lo, 16, v2
	v_cmp_ne_u32_e64 s2, 0, v2
                                        ; implicit-def: $vgpr17
	s_delay_alu instid0(VALU_DEP_3) | instskip(NEXT) | instid1(VALU_DEP_1)
	v_dual_cndmask_b32 v1, 0, v1 :: v_dual_cndmask_b32 v0, 7, v0
	v_cmp_ne_u64_e32 vcc_lo, 0, v[0:1]
	s_delay_alu instid0(VALU_DEP_3) | instskip(NEXT) | instid1(SALU_CYCLE_1)
	s_or_b32 s2, s2, vcc_lo
	s_and_saveexec_b32 s9, s2
	s_delay_alu instid0(SALU_CYCLE_1)
	s_xor_b32 s2, exec_lo, s9
; %bb.372:
	v_min_i32_e32 v1, 15, v2
	s_delay_alu instid0(VALU_DEP_1) | instskip(NEXT) | instid1(VALU_DEP_1)
	v_lshl_or_b32 v1, v1, 3, v20
                                        ; implicit-def: $vgpr20
	v_and_or_b32 v17, v0, 7, v1
; %bb.373:
	s_and_not1_saveexec_b32 s2, s2
; %bb.374:
	v_mov_b32_e32 v17, v20
; %bb.375:
	s_or_b32 exec_lo, exec_lo, s2
.LBB13_376:
	s_delay_alu instid0(SALU_CYCLE_1)
	s_or_b32 exec_lo, exec_lo, s8
.LBB13_377:
	s_and_not1_saveexec_b32 s2, s5
	s_delay_alu instid0(SALU_CYCLE_1)
	s_or_b32 exec_lo, exec_lo, s2
                                        ; implicit-def: $vgpr3
                                        ; implicit-def: $vgpr0_vgpr1
.LBB13_378:
	s_and_not1_saveexec_b32 s2, s4
; %bb.379:
	v_cmp_eq_u64_e32 vcc_lo, 0, v[0:1]
	v_or_b32_e32 v2, 0x7f, v3
	s_delay_alu instid0(VALU_DEP_1)
	v_cndmask_b32_e32 v17, v2, v17, vcc_lo
; %bb.380:
	s_or_b32 exec_lo, exec_lo, s2
	v_dual_mul_f32 v0, s3, v4 :: v_dual_mov_b32 v1, 0
	s_mov_b32 s2, 0xc3e00000
	s_delay_alu instid0(VALU_DEP_1) | instid1(SALU_CYCLE_1)
	v_maxmin_f32 v2, v0, s2, 0x43e00000
	s_mov_b32 s2, exec_lo
	s_delay_alu instid0(VALU_DEP_2) | instskip(NEXT) | instid1(VALU_DEP_2)
	v_mov_b32_e32 v22, v1
	v_lshrrev_b32_e32 v3, 24, v2
	v_and_b32_e32 v21, 0x7f800000, v2
	v_and_b32_e32 v0, 0x7fffff, v2
	s_delay_alu instid0(VALU_DEP_3) | instskip(NEXT) | instid1(VALU_DEP_1)
	v_and_b32_e32 v20, 0x80, v3
	v_or_b32_e32 v4, 0x7e, v20
	s_delay_alu instid0(VALU_DEP_4)
	v_cmpx_ne_u64_e32 0x7f800000, v[21:22]
	s_xor_b32 s4, exec_lo, s2
	s_cbranch_execz .LBB13_396
; %bb.381:
	v_dual_mov_b32 v22, v1 :: v_dual_and_b32 v21, 0x7fffffff, v2
	s_mov_b32 s2, exec_lo
	s_delay_alu instid0(VALU_DEP_1)
	v_cmpx_gt_u64_e32 0x43e00001, v[21:22]
	s_xor_b32 s5, exec_lo, s2
	s_cbranch_execz .LBB13_395
; %bb.382:
	v_mov_b32_e32 v4, 0
	s_mov_b32 s8, exec_lo
	v_cmpx_ne_u32_e32 0, v2
	s_cbranch_execz .LBB13_394
; %bb.383:
	v_bfe_u32 v4, v2, 23, 8
	v_or_b32_e32 v22, 0x800000, v0
	s_delay_alu instid0(VALU_DEP_2) | instskip(SKIP_1) | instid1(VALU_DEP_2)
	v_sub_nc_u32_e32 v2, 0x79, v4
	v_cmp_gt_u32_e32 vcc_lo, 0x7a, v4
	v_cndmask_b32_e32 v2, 0, v2, vcc_lo
	v_cmp_eq_u32_e32 vcc_lo, 0, v4
	s_delay_alu instid0(VALU_DEP_2) | instskip(SKIP_1) | instid1(VALU_DEP_2)
	v_cndmask_b32_e64 v21, v2, 0x78, vcc_lo
	v_cndmask_b32_e32 v0, v22, v0, vcc_lo
	v_add_nc_u32_e32 v2, 20, v21
	v_add_nc_u32_e32 v22, 19, v21
	s_delay_alu instid0(VALU_DEP_2) | instskip(NEXT) | instid1(VALU_DEP_1)
	v_lshlrev_b64 v[2:3], v2, -1
	v_not_b32_e32 v24, v2
	s_delay_alu instid0(VALU_DEP_2) | instskip(NEXT) | instid1(VALU_DEP_4)
	v_not_b32_e32 v23, v3
	v_lshlrev_b64 v[2:3], v22, 1
	s_delay_alu instid0(VALU_DEP_3) | instskip(SKIP_1) | instid1(VALU_DEP_4)
	v_and_b32_e32 v22, v0, v24
	v_lshrrev_b64 v[0:1], v21, v[0:1]
	v_and_b32_e32 v23, 0, v23
	s_delay_alu instid0(VALU_DEP_1) | instskip(NEXT) | instid1(VALU_DEP_3)
	v_cmp_eq_u64_e64 s2, v[22:23], v[2:3]
	v_dual_mov_b32 v3, v1 :: v_dual_mov_b32 v2, v0
	s_delay_alu instid0(VALU_DEP_2)
	s_and_saveexec_b32 s9, s2
; %bb.384:
	v_bfe_u32 v2, v0, 20, 1
	s_delay_alu instid0(VALU_DEP_1) | instskip(NEXT) | instid1(VALU_DEP_1)
	v_add_co_u32 v2, s2, v0, v2
	v_add_co_u32 v2, s2, v2, -1
; %bb.385:
	s_or_b32 exec_lo, exec_lo, s9
	v_add_nc_u32_e32 v3, 0xffffff81, v4
	v_lshrrev_b32_e32 v4, 23, v0
	s_delay_alu instid0(VALU_DEP_3) | instskip(SKIP_1) | instid1(VALU_DEP_3)
	v_and_b32_e32 v2, 0xfffff, v2
	s_mov_b32 s2, exec_lo
	v_cndmask_b32_e64 v3, v3, 0xffffff82, vcc_lo
	s_delay_alu instid0(VALU_DEP_2) | instskip(SKIP_1) | instid1(VALU_DEP_3)
	v_add_co_u32 v0, vcc_lo, v2, v0
	v_add_co_ci_u32_e32 v1, vcc_lo, 0, v1, vcc_lo
	v_add3_u32 v3, v21, v3, v4
                                        ; implicit-def: $vgpr2
	s_delay_alu instid0(VALU_DEP_1) | instskip(NEXT) | instid1(VALU_DEP_1)
	v_add_nc_u32_e32 v4, 6, v3
	v_cmpx_ne_u32_e32 0, v4
	s_xor_b32 s2, exec_lo, s2
; %bb.386:
	v_cmp_lt_u64_e32 vcc_lo, 0xffffff, v[0:1]
	v_add_nc_u32_e32 v2, 7, v3
	v_cndmask_b32_e64 v3, 0, 1, vcc_lo
	s_delay_alu instid0(VALU_DEP_2) | instskip(NEXT) | instid1(VALU_DEP_2)
	v_cndmask_b32_e32 v2, v4, v2, vcc_lo
	v_lshrrev_b64 v[0:1], v3, v[0:1]
; %bb.387:
	s_and_not1_saveexec_b32 s2, s2
; %bb.388:
	s_delay_alu instid0(VALU_DEP_1)
	v_bfe_u32 v2, v0, 23, 1
; %bb.389:
	s_or_b32 exec_lo, exec_lo, s2
	s_delay_alu instid0(VALU_DEP_2) | instskip(NEXT) | instid1(VALU_DEP_2)
	v_lshrrev_b64 v[0:1], 20, v[0:1]
	v_cmp_gt_i32_e32 vcc_lo, 16, v2
	v_cmp_ne_u32_e64 s2, 0, v2
                                        ; implicit-def: $vgpr4
	s_delay_alu instid0(VALU_DEP_3) | instskip(NEXT) | instid1(VALU_DEP_1)
	v_dual_cndmask_b32 v1, 0, v1 :: v_dual_cndmask_b32 v0, 7, v0
	v_cmp_ne_u64_e32 vcc_lo, 0, v[0:1]
	s_delay_alu instid0(VALU_DEP_3) | instskip(NEXT) | instid1(SALU_CYCLE_1)
	s_or_b32 s2, s2, vcc_lo
	s_and_saveexec_b32 s9, s2
	s_delay_alu instid0(SALU_CYCLE_1)
	s_xor_b32 s2, exec_lo, s9
; %bb.390:
	v_min_i32_e32 v1, 15, v2
	s_delay_alu instid0(VALU_DEP_1) | instskip(NEXT) | instid1(VALU_DEP_1)
	v_lshl_or_b32 v1, v1, 3, v20
                                        ; implicit-def: $vgpr20
	v_and_or_b32 v4, v0, 7, v1
; %bb.391:
	s_and_not1_saveexec_b32 s2, s2
; %bb.392:
	v_mov_b32_e32 v4, v20
; %bb.393:
	s_or_b32 exec_lo, exec_lo, s2
.LBB13_394:
	s_delay_alu instid0(SALU_CYCLE_1)
	s_or_b32 exec_lo, exec_lo, s8
.LBB13_395:
	s_and_not1_saveexec_b32 s2, s5
	s_delay_alu instid0(SALU_CYCLE_1)
	s_or_b32 exec_lo, exec_lo, s2
                                        ; implicit-def: $vgpr3
                                        ; implicit-def: $vgpr0_vgpr1
.LBB13_396:
	s_and_not1_saveexec_b32 s2, s4
; %bb.397:
	v_cmp_eq_u64_e32 vcc_lo, 0, v[0:1]
	v_or_b32_e32 v2, 0x7f, v3
	s_delay_alu instid0(VALU_DEP_1)
	v_cndmask_b32_e32 v4, v2, v4, vcc_lo
; %bb.398:
	s_or_b32 exec_lo, exec_lo, s2
	v_dual_mul_f32 v0, s3, v5 :: v_dual_mov_b32 v1, 0
	s_mov_b32 s2, 0xc3e00000
	s_delay_alu instid0(VALU_DEP_1) | instid1(SALU_CYCLE_1)
	v_maxmin_f32 v2, v0, s2, 0x43e00000
	s_mov_b32 s2, exec_lo
	s_delay_alu instid0(VALU_DEP_2) | instskip(NEXT) | instid1(VALU_DEP_2)
	v_mov_b32_e32 v22, v1
	v_lshrrev_b32_e32 v3, 24, v2
	v_and_b32_e32 v21, 0x7f800000, v2
	v_and_b32_e32 v0, 0x7fffff, v2
	s_delay_alu instid0(VALU_DEP_3) | instskip(NEXT) | instid1(VALU_DEP_1)
	v_and_b32_e32 v20, 0x80, v3
	v_or_b32_e32 v5, 0x7e, v20
	s_delay_alu instid0(VALU_DEP_4)
	v_cmpx_ne_u64_e32 0x7f800000, v[21:22]
	s_xor_b32 s4, exec_lo, s2
	s_cbranch_execz .LBB13_414
; %bb.399:
	v_dual_mov_b32 v22, v1 :: v_dual_and_b32 v21, 0x7fffffff, v2
	s_mov_b32 s2, exec_lo
	s_delay_alu instid0(VALU_DEP_1)
	v_cmpx_gt_u64_e32 0x43e00001, v[21:22]
	s_xor_b32 s5, exec_lo, s2
	s_cbranch_execz .LBB13_413
; %bb.400:
	v_mov_b32_e32 v5, 0
	s_mov_b32 s8, exec_lo
	v_cmpx_ne_u32_e32 0, v2
	s_cbranch_execz .LBB13_412
; %bb.401:
	v_bfe_u32 v5, v2, 23, 8
	v_or_b32_e32 v22, 0x800000, v0
	s_delay_alu instid0(VALU_DEP_2) | instskip(SKIP_1) | instid1(VALU_DEP_2)
	v_sub_nc_u32_e32 v2, 0x79, v5
	v_cmp_gt_u32_e32 vcc_lo, 0x7a, v5
	v_cndmask_b32_e32 v2, 0, v2, vcc_lo
	v_cmp_eq_u32_e32 vcc_lo, 0, v5
	s_delay_alu instid0(VALU_DEP_2) | instskip(SKIP_1) | instid1(VALU_DEP_2)
	v_cndmask_b32_e64 v21, v2, 0x78, vcc_lo
	v_cndmask_b32_e32 v0, v22, v0, vcc_lo
	v_add_nc_u32_e32 v2, 20, v21
	v_add_nc_u32_e32 v22, 19, v21
	s_delay_alu instid0(VALU_DEP_2) | instskip(NEXT) | instid1(VALU_DEP_1)
	v_lshlrev_b64 v[2:3], v2, -1
	v_not_b32_e32 v24, v2
	s_delay_alu instid0(VALU_DEP_2) | instskip(NEXT) | instid1(VALU_DEP_4)
	v_not_b32_e32 v23, v3
	v_lshlrev_b64 v[2:3], v22, 1
	s_delay_alu instid0(VALU_DEP_3) | instskip(SKIP_1) | instid1(VALU_DEP_4)
	v_and_b32_e32 v22, v0, v24
	v_lshrrev_b64 v[0:1], v21, v[0:1]
	v_and_b32_e32 v23, 0, v23
	s_delay_alu instid0(VALU_DEP_1) | instskip(NEXT) | instid1(VALU_DEP_3)
	v_cmp_eq_u64_e64 s2, v[22:23], v[2:3]
	v_dual_mov_b32 v3, v1 :: v_dual_mov_b32 v2, v0
	s_delay_alu instid0(VALU_DEP_2)
	s_and_saveexec_b32 s9, s2
; %bb.402:
	v_bfe_u32 v2, v0, 20, 1
	s_delay_alu instid0(VALU_DEP_1) | instskip(NEXT) | instid1(VALU_DEP_1)
	v_add_co_u32 v2, s2, v0, v2
	v_add_co_u32 v2, s2, v2, -1
; %bb.403:
	s_or_b32 exec_lo, exec_lo, s9
	v_add_nc_u32_e32 v3, 0xffffff81, v5
	v_lshrrev_b32_e32 v5, 23, v0
	s_delay_alu instid0(VALU_DEP_3) | instskip(SKIP_1) | instid1(VALU_DEP_3)
	v_and_b32_e32 v2, 0xfffff, v2
	s_mov_b32 s2, exec_lo
	v_cndmask_b32_e64 v3, v3, 0xffffff82, vcc_lo
	s_delay_alu instid0(VALU_DEP_2) | instskip(SKIP_1) | instid1(VALU_DEP_3)
	v_add_co_u32 v0, vcc_lo, v2, v0
	v_add_co_ci_u32_e32 v1, vcc_lo, 0, v1, vcc_lo
	v_add3_u32 v3, v21, v3, v5
                                        ; implicit-def: $vgpr2
	s_delay_alu instid0(VALU_DEP_1) | instskip(NEXT) | instid1(VALU_DEP_1)
	v_add_nc_u32_e32 v5, 6, v3
	v_cmpx_ne_u32_e32 0, v5
	s_xor_b32 s2, exec_lo, s2
; %bb.404:
	v_cmp_lt_u64_e32 vcc_lo, 0xffffff, v[0:1]
	v_add_nc_u32_e32 v2, 7, v3
	v_cndmask_b32_e64 v3, 0, 1, vcc_lo
	s_delay_alu instid0(VALU_DEP_2) | instskip(NEXT) | instid1(VALU_DEP_2)
	v_cndmask_b32_e32 v2, v5, v2, vcc_lo
	v_lshrrev_b64 v[0:1], v3, v[0:1]
; %bb.405:
	s_and_not1_saveexec_b32 s2, s2
; %bb.406:
	s_delay_alu instid0(VALU_DEP_1)
	v_bfe_u32 v2, v0, 23, 1
; %bb.407:
	s_or_b32 exec_lo, exec_lo, s2
	s_delay_alu instid0(VALU_DEP_2) | instskip(NEXT) | instid1(VALU_DEP_2)
	v_lshrrev_b64 v[0:1], 20, v[0:1]
	v_cmp_gt_i32_e32 vcc_lo, 16, v2
	v_cmp_ne_u32_e64 s2, 0, v2
                                        ; implicit-def: $vgpr5
	s_delay_alu instid0(VALU_DEP_3) | instskip(NEXT) | instid1(VALU_DEP_1)
	v_dual_cndmask_b32 v1, 0, v1 :: v_dual_cndmask_b32 v0, 7, v0
	v_cmp_ne_u64_e32 vcc_lo, 0, v[0:1]
	s_delay_alu instid0(VALU_DEP_3) | instskip(NEXT) | instid1(SALU_CYCLE_1)
	s_or_b32 s2, s2, vcc_lo
	s_and_saveexec_b32 s9, s2
	s_delay_alu instid0(SALU_CYCLE_1)
	s_xor_b32 s2, exec_lo, s9
; %bb.408:
	v_min_i32_e32 v1, 15, v2
	s_delay_alu instid0(VALU_DEP_1) | instskip(NEXT) | instid1(VALU_DEP_1)
	v_lshl_or_b32 v1, v1, 3, v20
                                        ; implicit-def: $vgpr20
	v_and_or_b32 v5, v0, 7, v1
; %bb.409:
	s_and_not1_saveexec_b32 s2, s2
; %bb.410:
	v_mov_b32_e32 v5, v20
; %bb.411:
	s_or_b32 exec_lo, exec_lo, s2
.LBB13_412:
	s_delay_alu instid0(SALU_CYCLE_1)
	s_or_b32 exec_lo, exec_lo, s8
.LBB13_413:
	s_and_not1_saveexec_b32 s2, s5
	s_delay_alu instid0(SALU_CYCLE_1)
	s_or_b32 exec_lo, exec_lo, s2
                                        ; implicit-def: $vgpr3
                                        ; implicit-def: $vgpr0_vgpr1
.LBB13_414:
	s_and_not1_saveexec_b32 s2, s4
; %bb.415:
	v_cmp_eq_u64_e32 vcc_lo, 0, v[0:1]
	v_or_b32_e32 v2, 0x7f, v3
	s_delay_alu instid0(VALU_DEP_1)
	v_cndmask_b32_e32 v5, v2, v5, vcc_lo
; %bb.416:
	s_or_b32 exec_lo, exec_lo, s2
	v_dual_mul_f32 v0, s3, v6 :: v_dual_mov_b32 v1, 0
	s_mov_b32 s2, 0xc3e00000
	s_delay_alu instid0(VALU_DEP_1) | instid1(SALU_CYCLE_1)
	v_maxmin_f32 v2, v0, s2, 0x43e00000
	s_mov_b32 s2, exec_lo
	s_delay_alu instid0(VALU_DEP_2) | instskip(NEXT) | instid1(VALU_DEP_2)
	v_mov_b32_e32 v22, v1
	v_lshrrev_b32_e32 v3, 24, v2
	v_and_b32_e32 v21, 0x7f800000, v2
	v_and_b32_e32 v0, 0x7fffff, v2
	s_delay_alu instid0(VALU_DEP_3) | instskip(NEXT) | instid1(VALU_DEP_1)
	v_and_b32_e32 v20, 0x80, v3
	v_or_b32_e32 v6, 0x7e, v20
	s_delay_alu instid0(VALU_DEP_4)
	v_cmpx_ne_u64_e32 0x7f800000, v[21:22]
	s_xor_b32 s4, exec_lo, s2
	s_cbranch_execz .LBB13_432
; %bb.417:
	v_dual_mov_b32 v22, v1 :: v_dual_and_b32 v21, 0x7fffffff, v2
	s_mov_b32 s2, exec_lo
	s_delay_alu instid0(VALU_DEP_1)
	v_cmpx_gt_u64_e32 0x43e00001, v[21:22]
	s_xor_b32 s5, exec_lo, s2
	s_cbranch_execz .LBB13_431
; %bb.418:
	v_mov_b32_e32 v6, 0
	s_mov_b32 s8, exec_lo
	v_cmpx_ne_u32_e32 0, v2
	s_cbranch_execz .LBB13_430
; %bb.419:
	v_bfe_u32 v6, v2, 23, 8
	v_or_b32_e32 v22, 0x800000, v0
	s_delay_alu instid0(VALU_DEP_2) | instskip(SKIP_1) | instid1(VALU_DEP_2)
	v_sub_nc_u32_e32 v2, 0x79, v6
	v_cmp_gt_u32_e32 vcc_lo, 0x7a, v6
	v_cndmask_b32_e32 v2, 0, v2, vcc_lo
	v_cmp_eq_u32_e32 vcc_lo, 0, v6
	s_delay_alu instid0(VALU_DEP_2) | instskip(SKIP_1) | instid1(VALU_DEP_2)
	v_cndmask_b32_e64 v21, v2, 0x78, vcc_lo
	v_cndmask_b32_e32 v0, v22, v0, vcc_lo
	v_add_nc_u32_e32 v2, 20, v21
	v_add_nc_u32_e32 v22, 19, v21
	s_delay_alu instid0(VALU_DEP_2) | instskip(NEXT) | instid1(VALU_DEP_1)
	v_lshlrev_b64 v[2:3], v2, -1
	v_not_b32_e32 v24, v2
	s_delay_alu instid0(VALU_DEP_2) | instskip(NEXT) | instid1(VALU_DEP_4)
	v_not_b32_e32 v23, v3
	v_lshlrev_b64 v[2:3], v22, 1
	s_delay_alu instid0(VALU_DEP_3) | instskip(SKIP_1) | instid1(VALU_DEP_4)
	v_and_b32_e32 v22, v0, v24
	v_lshrrev_b64 v[0:1], v21, v[0:1]
	v_and_b32_e32 v23, 0, v23
	s_delay_alu instid0(VALU_DEP_1) | instskip(NEXT) | instid1(VALU_DEP_3)
	v_cmp_eq_u64_e64 s2, v[22:23], v[2:3]
	v_dual_mov_b32 v3, v1 :: v_dual_mov_b32 v2, v0
	s_delay_alu instid0(VALU_DEP_2)
	s_and_saveexec_b32 s9, s2
; %bb.420:
	v_bfe_u32 v2, v0, 20, 1
	s_delay_alu instid0(VALU_DEP_1) | instskip(NEXT) | instid1(VALU_DEP_1)
	v_add_co_u32 v2, s2, v0, v2
	v_add_co_u32 v2, s2, v2, -1
; %bb.421:
	s_or_b32 exec_lo, exec_lo, s9
	v_add_nc_u32_e32 v3, 0xffffff81, v6
	v_lshrrev_b32_e32 v6, 23, v0
	s_delay_alu instid0(VALU_DEP_3) | instskip(SKIP_1) | instid1(VALU_DEP_3)
	v_and_b32_e32 v2, 0xfffff, v2
	s_mov_b32 s2, exec_lo
	v_cndmask_b32_e64 v3, v3, 0xffffff82, vcc_lo
	s_delay_alu instid0(VALU_DEP_2) | instskip(SKIP_1) | instid1(VALU_DEP_3)
	v_add_co_u32 v0, vcc_lo, v2, v0
	v_add_co_ci_u32_e32 v1, vcc_lo, 0, v1, vcc_lo
	v_add3_u32 v3, v21, v3, v6
                                        ; implicit-def: $vgpr2
	s_delay_alu instid0(VALU_DEP_1) | instskip(NEXT) | instid1(VALU_DEP_1)
	v_add_nc_u32_e32 v6, 6, v3
	v_cmpx_ne_u32_e32 0, v6
	s_xor_b32 s2, exec_lo, s2
; %bb.422:
	v_cmp_lt_u64_e32 vcc_lo, 0xffffff, v[0:1]
	v_add_nc_u32_e32 v2, 7, v3
	v_cndmask_b32_e64 v3, 0, 1, vcc_lo
	s_delay_alu instid0(VALU_DEP_2) | instskip(NEXT) | instid1(VALU_DEP_2)
	v_cndmask_b32_e32 v2, v6, v2, vcc_lo
	v_lshrrev_b64 v[0:1], v3, v[0:1]
; %bb.423:
	s_and_not1_saveexec_b32 s2, s2
; %bb.424:
	s_delay_alu instid0(VALU_DEP_1)
	v_bfe_u32 v2, v0, 23, 1
; %bb.425:
	s_or_b32 exec_lo, exec_lo, s2
	s_delay_alu instid0(VALU_DEP_2) | instskip(NEXT) | instid1(VALU_DEP_2)
	v_lshrrev_b64 v[0:1], 20, v[0:1]
	v_cmp_gt_i32_e32 vcc_lo, 16, v2
	v_cmp_ne_u32_e64 s2, 0, v2
                                        ; implicit-def: $vgpr6
	s_delay_alu instid0(VALU_DEP_3) | instskip(NEXT) | instid1(VALU_DEP_1)
	v_dual_cndmask_b32 v1, 0, v1 :: v_dual_cndmask_b32 v0, 7, v0
	v_cmp_ne_u64_e32 vcc_lo, 0, v[0:1]
	s_delay_alu instid0(VALU_DEP_3) | instskip(NEXT) | instid1(SALU_CYCLE_1)
	s_or_b32 s2, s2, vcc_lo
	s_and_saveexec_b32 s9, s2
	s_delay_alu instid0(SALU_CYCLE_1)
	s_xor_b32 s2, exec_lo, s9
; %bb.426:
	v_min_i32_e32 v1, 15, v2
	s_delay_alu instid0(VALU_DEP_1) | instskip(NEXT) | instid1(VALU_DEP_1)
	v_lshl_or_b32 v1, v1, 3, v20
                                        ; implicit-def: $vgpr20
	v_and_or_b32 v6, v0, 7, v1
; %bb.427:
	s_and_not1_saveexec_b32 s2, s2
; %bb.428:
	v_mov_b32_e32 v6, v20
; %bb.429:
	s_or_b32 exec_lo, exec_lo, s2
.LBB13_430:
	s_delay_alu instid0(SALU_CYCLE_1)
	s_or_b32 exec_lo, exec_lo, s8
.LBB13_431:
	s_and_not1_saveexec_b32 s2, s5
	s_delay_alu instid0(SALU_CYCLE_1)
	s_or_b32 exec_lo, exec_lo, s2
                                        ; implicit-def: $vgpr3
                                        ; implicit-def: $vgpr0_vgpr1
.LBB13_432:
	s_and_not1_saveexec_b32 s2, s4
; %bb.433:
	v_cmp_eq_u64_e32 vcc_lo, 0, v[0:1]
	v_or_b32_e32 v2, 0x7f, v3
	s_delay_alu instid0(VALU_DEP_1)
	v_cndmask_b32_e32 v6, v2, v6, vcc_lo
; %bb.434:
	s_or_b32 exec_lo, exec_lo, s2
	v_dual_mul_f32 v0, s3, v7 :: v_dual_mov_b32 v1, 0
	s_mov_b32 s2, 0xc3e00000
	s_delay_alu instid0(VALU_DEP_1) | instid1(SALU_CYCLE_1)
	v_maxmin_f32 v2, v0, s2, 0x43e00000
	s_mov_b32 s2, exec_lo
	s_delay_alu instid0(VALU_DEP_2) | instskip(NEXT) | instid1(VALU_DEP_2)
	v_mov_b32_e32 v22, v1
	v_lshrrev_b32_e32 v3, 24, v2
	v_and_b32_e32 v21, 0x7f800000, v2
	v_and_b32_e32 v0, 0x7fffff, v2
	s_delay_alu instid0(VALU_DEP_3) | instskip(NEXT) | instid1(VALU_DEP_1)
	v_and_b32_e32 v20, 0x80, v3
	v_or_b32_e32 v7, 0x7e, v20
	s_delay_alu instid0(VALU_DEP_4)
	v_cmpx_ne_u64_e32 0x7f800000, v[21:22]
	s_xor_b32 s4, exec_lo, s2
	s_cbranch_execz .LBB13_450
; %bb.435:
	v_dual_mov_b32 v22, v1 :: v_dual_and_b32 v21, 0x7fffffff, v2
	s_mov_b32 s2, exec_lo
	s_delay_alu instid0(VALU_DEP_1)
	v_cmpx_gt_u64_e32 0x43e00001, v[21:22]
	s_xor_b32 s5, exec_lo, s2
	s_cbranch_execz .LBB13_449
; %bb.436:
	v_mov_b32_e32 v7, 0
	s_mov_b32 s8, exec_lo
	v_cmpx_ne_u32_e32 0, v2
	s_cbranch_execz .LBB13_448
; %bb.437:
	v_bfe_u32 v7, v2, 23, 8
	v_or_b32_e32 v22, 0x800000, v0
	s_delay_alu instid0(VALU_DEP_2) | instskip(SKIP_1) | instid1(VALU_DEP_2)
	v_sub_nc_u32_e32 v2, 0x79, v7
	v_cmp_gt_u32_e32 vcc_lo, 0x7a, v7
	v_cndmask_b32_e32 v2, 0, v2, vcc_lo
	v_cmp_eq_u32_e32 vcc_lo, 0, v7
	s_delay_alu instid0(VALU_DEP_2) | instskip(SKIP_1) | instid1(VALU_DEP_2)
	v_cndmask_b32_e64 v21, v2, 0x78, vcc_lo
	v_cndmask_b32_e32 v0, v22, v0, vcc_lo
	v_add_nc_u32_e32 v2, 20, v21
	v_add_nc_u32_e32 v22, 19, v21
	s_delay_alu instid0(VALU_DEP_2) | instskip(NEXT) | instid1(VALU_DEP_1)
	v_lshlrev_b64 v[2:3], v2, -1
	v_not_b32_e32 v24, v2
	s_delay_alu instid0(VALU_DEP_2) | instskip(NEXT) | instid1(VALU_DEP_4)
	v_not_b32_e32 v23, v3
	v_lshlrev_b64 v[2:3], v22, 1
	s_delay_alu instid0(VALU_DEP_3) | instskip(SKIP_1) | instid1(VALU_DEP_4)
	v_and_b32_e32 v22, v0, v24
	v_lshrrev_b64 v[0:1], v21, v[0:1]
	v_and_b32_e32 v23, 0, v23
	s_delay_alu instid0(VALU_DEP_1) | instskip(NEXT) | instid1(VALU_DEP_3)
	v_cmp_eq_u64_e64 s2, v[22:23], v[2:3]
	v_dual_mov_b32 v3, v1 :: v_dual_mov_b32 v2, v0
	s_delay_alu instid0(VALU_DEP_2)
	s_and_saveexec_b32 s9, s2
; %bb.438:
	v_bfe_u32 v2, v0, 20, 1
	s_delay_alu instid0(VALU_DEP_1) | instskip(NEXT) | instid1(VALU_DEP_1)
	v_add_co_u32 v2, s2, v0, v2
	v_add_co_u32 v2, s2, v2, -1
; %bb.439:
	s_or_b32 exec_lo, exec_lo, s9
	v_add_nc_u32_e32 v3, 0xffffff81, v7
	v_lshrrev_b32_e32 v7, 23, v0
	s_delay_alu instid0(VALU_DEP_3) | instskip(SKIP_1) | instid1(VALU_DEP_3)
	v_and_b32_e32 v2, 0xfffff, v2
	s_mov_b32 s2, exec_lo
	v_cndmask_b32_e64 v3, v3, 0xffffff82, vcc_lo
	s_delay_alu instid0(VALU_DEP_2) | instskip(SKIP_1) | instid1(VALU_DEP_3)
	v_add_co_u32 v0, vcc_lo, v2, v0
	v_add_co_ci_u32_e32 v1, vcc_lo, 0, v1, vcc_lo
	v_add3_u32 v3, v21, v3, v7
                                        ; implicit-def: $vgpr2
	s_delay_alu instid0(VALU_DEP_1) | instskip(NEXT) | instid1(VALU_DEP_1)
	v_add_nc_u32_e32 v7, 6, v3
	v_cmpx_ne_u32_e32 0, v7
	s_xor_b32 s2, exec_lo, s2
; %bb.440:
	v_cmp_lt_u64_e32 vcc_lo, 0xffffff, v[0:1]
	v_add_nc_u32_e32 v2, 7, v3
	v_cndmask_b32_e64 v3, 0, 1, vcc_lo
	s_delay_alu instid0(VALU_DEP_2) | instskip(NEXT) | instid1(VALU_DEP_2)
	v_cndmask_b32_e32 v2, v7, v2, vcc_lo
	v_lshrrev_b64 v[0:1], v3, v[0:1]
; %bb.441:
	s_and_not1_saveexec_b32 s2, s2
; %bb.442:
	s_delay_alu instid0(VALU_DEP_1)
	v_bfe_u32 v2, v0, 23, 1
; %bb.443:
	s_or_b32 exec_lo, exec_lo, s2
	s_delay_alu instid0(VALU_DEP_2) | instskip(NEXT) | instid1(VALU_DEP_2)
	v_lshrrev_b64 v[0:1], 20, v[0:1]
	v_cmp_gt_i32_e32 vcc_lo, 16, v2
	v_cmp_ne_u32_e64 s2, 0, v2
                                        ; implicit-def: $vgpr7
	s_delay_alu instid0(VALU_DEP_3) | instskip(NEXT) | instid1(VALU_DEP_1)
	v_dual_cndmask_b32 v1, 0, v1 :: v_dual_cndmask_b32 v0, 7, v0
	v_cmp_ne_u64_e32 vcc_lo, 0, v[0:1]
	s_delay_alu instid0(VALU_DEP_3) | instskip(NEXT) | instid1(SALU_CYCLE_1)
	s_or_b32 s2, s2, vcc_lo
	s_and_saveexec_b32 s9, s2
	s_delay_alu instid0(SALU_CYCLE_1)
	s_xor_b32 s2, exec_lo, s9
; %bb.444:
	v_min_i32_e32 v1, 15, v2
	s_delay_alu instid0(VALU_DEP_1) | instskip(NEXT) | instid1(VALU_DEP_1)
	v_lshl_or_b32 v1, v1, 3, v20
                                        ; implicit-def: $vgpr20
	v_and_or_b32 v7, v0, 7, v1
; %bb.445:
	s_and_not1_saveexec_b32 s2, s2
; %bb.446:
	v_mov_b32_e32 v7, v20
; %bb.447:
	s_or_b32 exec_lo, exec_lo, s2
.LBB13_448:
	s_delay_alu instid0(SALU_CYCLE_1)
	s_or_b32 exec_lo, exec_lo, s8
.LBB13_449:
	s_and_not1_saveexec_b32 s2, s5
	s_delay_alu instid0(SALU_CYCLE_1)
	s_or_b32 exec_lo, exec_lo, s2
                                        ; implicit-def: $vgpr3
                                        ; implicit-def: $vgpr0_vgpr1
.LBB13_450:
	s_and_not1_saveexec_b32 s2, s4
; %bb.451:
	v_cmp_eq_u64_e32 vcc_lo, 0, v[0:1]
	v_or_b32_e32 v2, 0x7f, v3
	s_delay_alu instid0(VALU_DEP_1)
	v_cndmask_b32_e32 v7, v2, v7, vcc_lo
; %bb.452:
	s_or_b32 exec_lo, exec_lo, s2
	v_dual_mul_f32 v0, s3, v8 :: v_dual_mov_b32 v1, 0
	s_mov_b32 s2, 0xc3e00000
	s_delay_alu instid0(VALU_DEP_1) | instid1(SALU_CYCLE_1)
	v_maxmin_f32 v2, v0, s2, 0x43e00000
	s_mov_b32 s2, exec_lo
	s_delay_alu instid0(VALU_DEP_2) | instskip(NEXT) | instid1(VALU_DEP_2)
	v_mov_b32_e32 v22, v1
	v_lshrrev_b32_e32 v3, 24, v2
	v_and_b32_e32 v21, 0x7f800000, v2
	v_and_b32_e32 v0, 0x7fffff, v2
	s_delay_alu instid0(VALU_DEP_3) | instskip(NEXT) | instid1(VALU_DEP_1)
	v_and_b32_e32 v20, 0x80, v3
	v_or_b32_e32 v8, 0x7e, v20
	s_delay_alu instid0(VALU_DEP_4)
	v_cmpx_ne_u64_e32 0x7f800000, v[21:22]
	s_xor_b32 s4, exec_lo, s2
	s_cbranch_execz .LBB13_468
; %bb.453:
	v_dual_mov_b32 v22, v1 :: v_dual_and_b32 v21, 0x7fffffff, v2
	s_mov_b32 s2, exec_lo
	s_delay_alu instid0(VALU_DEP_1)
	v_cmpx_gt_u64_e32 0x43e00001, v[21:22]
	s_xor_b32 s5, exec_lo, s2
	s_cbranch_execz .LBB13_467
; %bb.454:
	v_mov_b32_e32 v8, 0
	s_mov_b32 s8, exec_lo
	v_cmpx_ne_u32_e32 0, v2
	s_cbranch_execz .LBB13_466
; %bb.455:
	v_bfe_u32 v8, v2, 23, 8
	v_or_b32_e32 v22, 0x800000, v0
	s_delay_alu instid0(VALU_DEP_2) | instskip(SKIP_1) | instid1(VALU_DEP_2)
	v_sub_nc_u32_e32 v2, 0x79, v8
	v_cmp_gt_u32_e32 vcc_lo, 0x7a, v8
	v_cndmask_b32_e32 v2, 0, v2, vcc_lo
	v_cmp_eq_u32_e32 vcc_lo, 0, v8
	s_delay_alu instid0(VALU_DEP_2) | instskip(SKIP_1) | instid1(VALU_DEP_2)
	v_cndmask_b32_e64 v21, v2, 0x78, vcc_lo
	v_cndmask_b32_e32 v0, v22, v0, vcc_lo
	v_add_nc_u32_e32 v2, 20, v21
	v_add_nc_u32_e32 v22, 19, v21
	s_delay_alu instid0(VALU_DEP_2) | instskip(NEXT) | instid1(VALU_DEP_1)
	v_lshlrev_b64 v[2:3], v2, -1
	v_not_b32_e32 v24, v2
	s_delay_alu instid0(VALU_DEP_2) | instskip(NEXT) | instid1(VALU_DEP_4)
	v_not_b32_e32 v23, v3
	v_lshlrev_b64 v[2:3], v22, 1
	s_delay_alu instid0(VALU_DEP_3) | instskip(SKIP_1) | instid1(VALU_DEP_4)
	v_and_b32_e32 v22, v0, v24
	v_lshrrev_b64 v[0:1], v21, v[0:1]
	v_and_b32_e32 v23, 0, v23
	s_delay_alu instid0(VALU_DEP_1) | instskip(NEXT) | instid1(VALU_DEP_3)
	v_cmp_eq_u64_e64 s2, v[22:23], v[2:3]
	v_dual_mov_b32 v3, v1 :: v_dual_mov_b32 v2, v0
	s_delay_alu instid0(VALU_DEP_2)
	s_and_saveexec_b32 s9, s2
; %bb.456:
	v_bfe_u32 v2, v0, 20, 1
	s_delay_alu instid0(VALU_DEP_1) | instskip(NEXT) | instid1(VALU_DEP_1)
	v_add_co_u32 v2, s2, v0, v2
	v_add_co_u32 v2, s2, v2, -1
; %bb.457:
	s_or_b32 exec_lo, exec_lo, s9
	v_add_nc_u32_e32 v3, 0xffffff81, v8
	v_lshrrev_b32_e32 v8, 23, v0
	s_delay_alu instid0(VALU_DEP_3) | instskip(SKIP_1) | instid1(VALU_DEP_3)
	v_and_b32_e32 v2, 0xfffff, v2
	s_mov_b32 s2, exec_lo
	v_cndmask_b32_e64 v3, v3, 0xffffff82, vcc_lo
	s_delay_alu instid0(VALU_DEP_2) | instskip(SKIP_1) | instid1(VALU_DEP_3)
	v_add_co_u32 v0, vcc_lo, v2, v0
	v_add_co_ci_u32_e32 v1, vcc_lo, 0, v1, vcc_lo
	v_add3_u32 v3, v21, v3, v8
                                        ; implicit-def: $vgpr2
	s_delay_alu instid0(VALU_DEP_1) | instskip(NEXT) | instid1(VALU_DEP_1)
	v_add_nc_u32_e32 v8, 6, v3
	v_cmpx_ne_u32_e32 0, v8
	s_xor_b32 s2, exec_lo, s2
; %bb.458:
	v_cmp_lt_u64_e32 vcc_lo, 0xffffff, v[0:1]
	v_add_nc_u32_e32 v2, 7, v3
	v_cndmask_b32_e64 v3, 0, 1, vcc_lo
	s_delay_alu instid0(VALU_DEP_2) | instskip(NEXT) | instid1(VALU_DEP_2)
	v_cndmask_b32_e32 v2, v8, v2, vcc_lo
	v_lshrrev_b64 v[0:1], v3, v[0:1]
; %bb.459:
	s_and_not1_saveexec_b32 s2, s2
; %bb.460:
	s_delay_alu instid0(VALU_DEP_1)
	v_bfe_u32 v2, v0, 23, 1
; %bb.461:
	s_or_b32 exec_lo, exec_lo, s2
	s_delay_alu instid0(VALU_DEP_2) | instskip(NEXT) | instid1(VALU_DEP_2)
	v_lshrrev_b64 v[0:1], 20, v[0:1]
	v_cmp_gt_i32_e32 vcc_lo, 16, v2
	v_cmp_ne_u32_e64 s2, 0, v2
                                        ; implicit-def: $vgpr8
	s_delay_alu instid0(VALU_DEP_3) | instskip(NEXT) | instid1(VALU_DEP_1)
	v_dual_cndmask_b32 v1, 0, v1 :: v_dual_cndmask_b32 v0, 7, v0
	v_cmp_ne_u64_e32 vcc_lo, 0, v[0:1]
	s_delay_alu instid0(VALU_DEP_3) | instskip(NEXT) | instid1(SALU_CYCLE_1)
	s_or_b32 s2, s2, vcc_lo
	s_and_saveexec_b32 s9, s2
	s_delay_alu instid0(SALU_CYCLE_1)
	s_xor_b32 s2, exec_lo, s9
; %bb.462:
	v_min_i32_e32 v1, 15, v2
	s_delay_alu instid0(VALU_DEP_1) | instskip(NEXT) | instid1(VALU_DEP_1)
	v_lshl_or_b32 v1, v1, 3, v20
                                        ; implicit-def: $vgpr20
	v_and_or_b32 v8, v0, 7, v1
; %bb.463:
	s_and_not1_saveexec_b32 s2, s2
; %bb.464:
	v_mov_b32_e32 v8, v20
; %bb.465:
	s_or_b32 exec_lo, exec_lo, s2
.LBB13_466:
	s_delay_alu instid0(SALU_CYCLE_1)
	s_or_b32 exec_lo, exec_lo, s8
.LBB13_467:
	s_and_not1_saveexec_b32 s2, s5
	s_delay_alu instid0(SALU_CYCLE_1)
	s_or_b32 exec_lo, exec_lo, s2
                                        ; implicit-def: $vgpr3
                                        ; implicit-def: $vgpr0_vgpr1
.LBB13_468:
	s_and_not1_saveexec_b32 s2, s4
; %bb.469:
	v_cmp_eq_u64_e32 vcc_lo, 0, v[0:1]
	v_or_b32_e32 v2, 0x7f, v3
	s_delay_alu instid0(VALU_DEP_1)
	v_cndmask_b32_e32 v8, v2, v8, vcc_lo
; %bb.470:
	s_or_b32 exec_lo, exec_lo, s2
	v_dual_mul_f32 v0, s3, v9 :: v_dual_mov_b32 v1, 0
	s_mov_b32 s2, 0xc3e00000
	s_delay_alu instid0(VALU_DEP_1) | instid1(SALU_CYCLE_1)
	v_maxmin_f32 v2, v0, s2, 0x43e00000
	s_mov_b32 s2, exec_lo
	s_delay_alu instid0(VALU_DEP_2) | instskip(NEXT) | instid1(VALU_DEP_2)
	v_mov_b32_e32 v22, v1
	v_lshrrev_b32_e32 v3, 24, v2
	v_and_b32_e32 v21, 0x7f800000, v2
	v_and_b32_e32 v0, 0x7fffff, v2
	s_delay_alu instid0(VALU_DEP_3) | instskip(NEXT) | instid1(VALU_DEP_1)
	v_and_b32_e32 v20, 0x80, v3
	v_or_b32_e32 v9, 0x7e, v20
	s_delay_alu instid0(VALU_DEP_4)
	v_cmpx_ne_u64_e32 0x7f800000, v[21:22]
	s_xor_b32 s4, exec_lo, s2
	s_cbranch_execz .LBB13_486
; %bb.471:
	v_dual_mov_b32 v22, v1 :: v_dual_and_b32 v21, 0x7fffffff, v2
	s_mov_b32 s2, exec_lo
	s_delay_alu instid0(VALU_DEP_1)
	v_cmpx_gt_u64_e32 0x43e00001, v[21:22]
	s_xor_b32 s5, exec_lo, s2
	s_cbranch_execz .LBB13_485
; %bb.472:
	v_mov_b32_e32 v9, 0
	s_mov_b32 s8, exec_lo
	v_cmpx_ne_u32_e32 0, v2
	s_cbranch_execz .LBB13_484
; %bb.473:
	v_bfe_u32 v9, v2, 23, 8
	v_or_b32_e32 v22, 0x800000, v0
	s_delay_alu instid0(VALU_DEP_2) | instskip(SKIP_1) | instid1(VALU_DEP_2)
	v_sub_nc_u32_e32 v2, 0x79, v9
	v_cmp_gt_u32_e32 vcc_lo, 0x7a, v9
	v_cndmask_b32_e32 v2, 0, v2, vcc_lo
	v_cmp_eq_u32_e32 vcc_lo, 0, v9
	s_delay_alu instid0(VALU_DEP_2) | instskip(SKIP_1) | instid1(VALU_DEP_2)
	v_cndmask_b32_e64 v21, v2, 0x78, vcc_lo
	v_cndmask_b32_e32 v0, v22, v0, vcc_lo
	v_add_nc_u32_e32 v2, 20, v21
	v_add_nc_u32_e32 v22, 19, v21
	s_delay_alu instid0(VALU_DEP_2) | instskip(NEXT) | instid1(VALU_DEP_1)
	v_lshlrev_b64 v[2:3], v2, -1
	v_not_b32_e32 v24, v2
	s_delay_alu instid0(VALU_DEP_2) | instskip(NEXT) | instid1(VALU_DEP_4)
	v_not_b32_e32 v23, v3
	v_lshlrev_b64 v[2:3], v22, 1
	s_delay_alu instid0(VALU_DEP_3) | instskip(SKIP_1) | instid1(VALU_DEP_4)
	v_and_b32_e32 v22, v0, v24
	v_lshrrev_b64 v[0:1], v21, v[0:1]
	v_and_b32_e32 v23, 0, v23
	s_delay_alu instid0(VALU_DEP_1) | instskip(NEXT) | instid1(VALU_DEP_3)
	v_cmp_eq_u64_e64 s2, v[22:23], v[2:3]
	v_dual_mov_b32 v3, v1 :: v_dual_mov_b32 v2, v0
	s_delay_alu instid0(VALU_DEP_2)
	s_and_saveexec_b32 s9, s2
; %bb.474:
	v_bfe_u32 v2, v0, 20, 1
	s_delay_alu instid0(VALU_DEP_1) | instskip(NEXT) | instid1(VALU_DEP_1)
	v_add_co_u32 v2, s2, v0, v2
	v_add_co_u32 v2, s2, v2, -1
; %bb.475:
	s_or_b32 exec_lo, exec_lo, s9
	v_add_nc_u32_e32 v3, 0xffffff81, v9
	v_lshrrev_b32_e32 v9, 23, v0
	s_delay_alu instid0(VALU_DEP_3) | instskip(SKIP_1) | instid1(VALU_DEP_3)
	v_and_b32_e32 v2, 0xfffff, v2
	s_mov_b32 s2, exec_lo
	v_cndmask_b32_e64 v3, v3, 0xffffff82, vcc_lo
	s_delay_alu instid0(VALU_DEP_2) | instskip(SKIP_1) | instid1(VALU_DEP_3)
	v_add_co_u32 v0, vcc_lo, v2, v0
	v_add_co_ci_u32_e32 v1, vcc_lo, 0, v1, vcc_lo
	v_add3_u32 v3, v21, v3, v9
                                        ; implicit-def: $vgpr2
	s_delay_alu instid0(VALU_DEP_1) | instskip(NEXT) | instid1(VALU_DEP_1)
	v_add_nc_u32_e32 v9, 6, v3
	v_cmpx_ne_u32_e32 0, v9
	s_xor_b32 s2, exec_lo, s2
; %bb.476:
	v_cmp_lt_u64_e32 vcc_lo, 0xffffff, v[0:1]
	v_add_nc_u32_e32 v2, 7, v3
	v_cndmask_b32_e64 v3, 0, 1, vcc_lo
	s_delay_alu instid0(VALU_DEP_2) | instskip(NEXT) | instid1(VALU_DEP_2)
	v_cndmask_b32_e32 v2, v9, v2, vcc_lo
	v_lshrrev_b64 v[0:1], v3, v[0:1]
; %bb.477:
	s_and_not1_saveexec_b32 s2, s2
; %bb.478:
	s_delay_alu instid0(VALU_DEP_1)
	v_bfe_u32 v2, v0, 23, 1
; %bb.479:
	s_or_b32 exec_lo, exec_lo, s2
	s_delay_alu instid0(VALU_DEP_2) | instskip(NEXT) | instid1(VALU_DEP_2)
	v_lshrrev_b64 v[0:1], 20, v[0:1]
	v_cmp_gt_i32_e32 vcc_lo, 16, v2
	v_cmp_ne_u32_e64 s2, 0, v2
                                        ; implicit-def: $vgpr9
	s_delay_alu instid0(VALU_DEP_3) | instskip(NEXT) | instid1(VALU_DEP_1)
	v_dual_cndmask_b32 v1, 0, v1 :: v_dual_cndmask_b32 v0, 7, v0
	v_cmp_ne_u64_e32 vcc_lo, 0, v[0:1]
	s_delay_alu instid0(VALU_DEP_3) | instskip(NEXT) | instid1(SALU_CYCLE_1)
	s_or_b32 s2, s2, vcc_lo
	s_and_saveexec_b32 s9, s2
	s_delay_alu instid0(SALU_CYCLE_1)
	s_xor_b32 s2, exec_lo, s9
; %bb.480:
	v_min_i32_e32 v1, 15, v2
	s_delay_alu instid0(VALU_DEP_1) | instskip(NEXT) | instid1(VALU_DEP_1)
	v_lshl_or_b32 v1, v1, 3, v20
                                        ; implicit-def: $vgpr20
	v_and_or_b32 v9, v0, 7, v1
; %bb.481:
	s_and_not1_saveexec_b32 s2, s2
; %bb.482:
	v_mov_b32_e32 v9, v20
; %bb.483:
	s_or_b32 exec_lo, exec_lo, s2
.LBB13_484:
	s_delay_alu instid0(SALU_CYCLE_1)
	s_or_b32 exec_lo, exec_lo, s8
.LBB13_485:
	s_and_not1_saveexec_b32 s2, s5
	s_delay_alu instid0(SALU_CYCLE_1)
	s_or_b32 exec_lo, exec_lo, s2
                                        ; implicit-def: $vgpr3
                                        ; implicit-def: $vgpr0_vgpr1
.LBB13_486:
	s_and_not1_saveexec_b32 s2, s4
; %bb.487:
	v_cmp_eq_u64_e32 vcc_lo, 0, v[0:1]
	v_or_b32_e32 v2, 0x7f, v3
	s_delay_alu instid0(VALU_DEP_1)
	v_cndmask_b32_e32 v9, v2, v9, vcc_lo
; %bb.488:
	s_or_b32 exec_lo, exec_lo, s2
	v_dual_mul_f32 v0, s3, v10 :: v_dual_mov_b32 v1, 0
	s_mov_b32 s2, 0xc3e00000
	s_delay_alu instid0(VALU_DEP_1) | instid1(SALU_CYCLE_1)
	v_maxmin_f32 v2, v0, s2, 0x43e00000
	s_mov_b32 s2, exec_lo
	s_delay_alu instid0(VALU_DEP_2) | instskip(NEXT) | instid1(VALU_DEP_2)
	v_mov_b32_e32 v22, v1
	v_lshrrev_b32_e32 v3, 24, v2
	v_and_b32_e32 v21, 0x7f800000, v2
	v_and_b32_e32 v0, 0x7fffff, v2
	s_delay_alu instid0(VALU_DEP_3) | instskip(NEXT) | instid1(VALU_DEP_1)
	v_and_b32_e32 v20, 0x80, v3
	v_or_b32_e32 v10, 0x7e, v20
	s_delay_alu instid0(VALU_DEP_4)
	v_cmpx_ne_u64_e32 0x7f800000, v[21:22]
	s_xor_b32 s4, exec_lo, s2
	s_cbranch_execz .LBB13_504
; %bb.489:
	v_dual_mov_b32 v22, v1 :: v_dual_and_b32 v21, 0x7fffffff, v2
	s_mov_b32 s2, exec_lo
	s_delay_alu instid0(VALU_DEP_1)
	v_cmpx_gt_u64_e32 0x43e00001, v[21:22]
	s_xor_b32 s5, exec_lo, s2
	s_cbranch_execz .LBB13_503
; %bb.490:
	v_mov_b32_e32 v10, 0
	s_mov_b32 s8, exec_lo
	v_cmpx_ne_u32_e32 0, v2
	s_cbranch_execz .LBB13_502
; %bb.491:
	v_bfe_u32 v10, v2, 23, 8
	v_or_b32_e32 v22, 0x800000, v0
	s_delay_alu instid0(VALU_DEP_2) | instskip(SKIP_1) | instid1(VALU_DEP_2)
	v_sub_nc_u32_e32 v2, 0x79, v10
	v_cmp_gt_u32_e32 vcc_lo, 0x7a, v10
	v_cndmask_b32_e32 v2, 0, v2, vcc_lo
	v_cmp_eq_u32_e32 vcc_lo, 0, v10
	s_delay_alu instid0(VALU_DEP_2) | instskip(SKIP_1) | instid1(VALU_DEP_2)
	v_cndmask_b32_e64 v21, v2, 0x78, vcc_lo
	v_cndmask_b32_e32 v0, v22, v0, vcc_lo
	v_add_nc_u32_e32 v2, 20, v21
	v_add_nc_u32_e32 v22, 19, v21
	s_delay_alu instid0(VALU_DEP_2) | instskip(NEXT) | instid1(VALU_DEP_1)
	v_lshlrev_b64 v[2:3], v2, -1
	v_not_b32_e32 v24, v2
	s_delay_alu instid0(VALU_DEP_2) | instskip(NEXT) | instid1(VALU_DEP_4)
	v_not_b32_e32 v23, v3
	v_lshlrev_b64 v[2:3], v22, 1
	s_delay_alu instid0(VALU_DEP_3) | instskip(SKIP_1) | instid1(VALU_DEP_4)
	v_and_b32_e32 v22, v0, v24
	v_lshrrev_b64 v[0:1], v21, v[0:1]
	v_and_b32_e32 v23, 0, v23
	s_delay_alu instid0(VALU_DEP_1) | instskip(NEXT) | instid1(VALU_DEP_3)
	v_cmp_eq_u64_e64 s2, v[22:23], v[2:3]
	v_dual_mov_b32 v3, v1 :: v_dual_mov_b32 v2, v0
	s_delay_alu instid0(VALU_DEP_2)
	s_and_saveexec_b32 s9, s2
; %bb.492:
	v_bfe_u32 v2, v0, 20, 1
	s_delay_alu instid0(VALU_DEP_1) | instskip(NEXT) | instid1(VALU_DEP_1)
	v_add_co_u32 v2, s2, v0, v2
	v_add_co_u32 v2, s2, v2, -1
; %bb.493:
	s_or_b32 exec_lo, exec_lo, s9
	v_add_nc_u32_e32 v3, 0xffffff81, v10
	v_lshrrev_b32_e32 v10, 23, v0
	s_delay_alu instid0(VALU_DEP_3) | instskip(SKIP_1) | instid1(VALU_DEP_3)
	v_and_b32_e32 v2, 0xfffff, v2
	s_mov_b32 s2, exec_lo
	v_cndmask_b32_e64 v3, v3, 0xffffff82, vcc_lo
	s_delay_alu instid0(VALU_DEP_2) | instskip(SKIP_1) | instid1(VALU_DEP_3)
	v_add_co_u32 v0, vcc_lo, v2, v0
	v_add_co_ci_u32_e32 v1, vcc_lo, 0, v1, vcc_lo
	v_add3_u32 v3, v21, v3, v10
                                        ; implicit-def: $vgpr2
	s_delay_alu instid0(VALU_DEP_1) | instskip(NEXT) | instid1(VALU_DEP_1)
	v_add_nc_u32_e32 v10, 6, v3
	v_cmpx_ne_u32_e32 0, v10
	s_xor_b32 s2, exec_lo, s2
; %bb.494:
	v_cmp_lt_u64_e32 vcc_lo, 0xffffff, v[0:1]
	v_add_nc_u32_e32 v2, 7, v3
	v_cndmask_b32_e64 v3, 0, 1, vcc_lo
	s_delay_alu instid0(VALU_DEP_2) | instskip(NEXT) | instid1(VALU_DEP_2)
	v_cndmask_b32_e32 v2, v10, v2, vcc_lo
	v_lshrrev_b64 v[0:1], v3, v[0:1]
; %bb.495:
	s_and_not1_saveexec_b32 s2, s2
; %bb.496:
	s_delay_alu instid0(VALU_DEP_1)
	v_bfe_u32 v2, v0, 23, 1
; %bb.497:
	s_or_b32 exec_lo, exec_lo, s2
	s_delay_alu instid0(VALU_DEP_2) | instskip(NEXT) | instid1(VALU_DEP_2)
	v_lshrrev_b64 v[0:1], 20, v[0:1]
	v_cmp_gt_i32_e32 vcc_lo, 16, v2
	v_cmp_ne_u32_e64 s2, 0, v2
                                        ; implicit-def: $vgpr10
	s_delay_alu instid0(VALU_DEP_3) | instskip(NEXT) | instid1(VALU_DEP_1)
	v_dual_cndmask_b32 v1, 0, v1 :: v_dual_cndmask_b32 v0, 7, v0
	v_cmp_ne_u64_e32 vcc_lo, 0, v[0:1]
	s_delay_alu instid0(VALU_DEP_3) | instskip(NEXT) | instid1(SALU_CYCLE_1)
	s_or_b32 s2, s2, vcc_lo
	s_and_saveexec_b32 s9, s2
	s_delay_alu instid0(SALU_CYCLE_1)
	s_xor_b32 s2, exec_lo, s9
; %bb.498:
	v_min_i32_e32 v1, 15, v2
	s_delay_alu instid0(VALU_DEP_1) | instskip(NEXT) | instid1(VALU_DEP_1)
	v_lshl_or_b32 v1, v1, 3, v20
                                        ; implicit-def: $vgpr20
	v_and_or_b32 v10, v0, 7, v1
; %bb.499:
	s_and_not1_saveexec_b32 s2, s2
; %bb.500:
	v_mov_b32_e32 v10, v20
; %bb.501:
	s_or_b32 exec_lo, exec_lo, s2
.LBB13_502:
	s_delay_alu instid0(SALU_CYCLE_1)
	s_or_b32 exec_lo, exec_lo, s8
.LBB13_503:
	s_and_not1_saveexec_b32 s2, s5
	s_delay_alu instid0(SALU_CYCLE_1)
	s_or_b32 exec_lo, exec_lo, s2
                                        ; implicit-def: $vgpr3
                                        ; implicit-def: $vgpr0_vgpr1
.LBB13_504:
	s_and_not1_saveexec_b32 s2, s4
; %bb.505:
	v_cmp_eq_u64_e32 vcc_lo, 0, v[0:1]
	v_or_b32_e32 v2, 0x7f, v3
	s_delay_alu instid0(VALU_DEP_1)
	v_cndmask_b32_e32 v10, v2, v10, vcc_lo
; %bb.506:
	s_or_b32 exec_lo, exec_lo, s2
	v_dual_mul_f32 v0, s3, v11 :: v_dual_mov_b32 v1, 0
	s_mov_b32 s2, 0xc3e00000
	s_delay_alu instid0(VALU_DEP_1) | instid1(SALU_CYCLE_1)
	v_maxmin_f32 v2, v0, s2, 0x43e00000
	s_mov_b32 s2, exec_lo
	s_delay_alu instid0(VALU_DEP_2) | instskip(NEXT) | instid1(VALU_DEP_2)
	v_mov_b32_e32 v22, v1
	v_lshrrev_b32_e32 v3, 24, v2
	v_and_b32_e32 v21, 0x7f800000, v2
	v_and_b32_e32 v0, 0x7fffff, v2
	s_delay_alu instid0(VALU_DEP_3) | instskip(NEXT) | instid1(VALU_DEP_1)
	v_and_b32_e32 v20, 0x80, v3
	v_or_b32_e32 v11, 0x7e, v20
	s_delay_alu instid0(VALU_DEP_4)
	v_cmpx_ne_u64_e32 0x7f800000, v[21:22]
	s_xor_b32 s4, exec_lo, s2
	s_cbranch_execz .LBB13_522
; %bb.507:
	v_dual_mov_b32 v22, v1 :: v_dual_and_b32 v21, 0x7fffffff, v2
	s_mov_b32 s2, exec_lo
	s_delay_alu instid0(VALU_DEP_1)
	v_cmpx_gt_u64_e32 0x43e00001, v[21:22]
	s_xor_b32 s5, exec_lo, s2
	s_cbranch_execz .LBB13_521
; %bb.508:
	v_mov_b32_e32 v11, 0
	s_mov_b32 s8, exec_lo
	v_cmpx_ne_u32_e32 0, v2
	s_cbranch_execz .LBB13_520
; %bb.509:
	v_bfe_u32 v11, v2, 23, 8
	v_or_b32_e32 v22, 0x800000, v0
	s_delay_alu instid0(VALU_DEP_2) | instskip(SKIP_1) | instid1(VALU_DEP_2)
	v_sub_nc_u32_e32 v2, 0x79, v11
	v_cmp_gt_u32_e32 vcc_lo, 0x7a, v11
	v_cndmask_b32_e32 v2, 0, v2, vcc_lo
	v_cmp_eq_u32_e32 vcc_lo, 0, v11
	s_delay_alu instid0(VALU_DEP_2) | instskip(SKIP_1) | instid1(VALU_DEP_2)
	v_cndmask_b32_e64 v21, v2, 0x78, vcc_lo
	v_cndmask_b32_e32 v0, v22, v0, vcc_lo
	v_add_nc_u32_e32 v2, 20, v21
	v_add_nc_u32_e32 v22, 19, v21
	s_delay_alu instid0(VALU_DEP_2) | instskip(NEXT) | instid1(VALU_DEP_1)
	v_lshlrev_b64 v[2:3], v2, -1
	v_not_b32_e32 v24, v2
	s_delay_alu instid0(VALU_DEP_2) | instskip(NEXT) | instid1(VALU_DEP_4)
	v_not_b32_e32 v23, v3
	v_lshlrev_b64 v[2:3], v22, 1
	s_delay_alu instid0(VALU_DEP_3) | instskip(SKIP_1) | instid1(VALU_DEP_4)
	v_and_b32_e32 v22, v0, v24
	v_lshrrev_b64 v[0:1], v21, v[0:1]
	v_and_b32_e32 v23, 0, v23
	s_delay_alu instid0(VALU_DEP_1) | instskip(NEXT) | instid1(VALU_DEP_3)
	v_cmp_eq_u64_e64 s2, v[22:23], v[2:3]
	v_dual_mov_b32 v3, v1 :: v_dual_mov_b32 v2, v0
	s_delay_alu instid0(VALU_DEP_2)
	s_and_saveexec_b32 s9, s2
; %bb.510:
	v_bfe_u32 v2, v0, 20, 1
	s_delay_alu instid0(VALU_DEP_1) | instskip(NEXT) | instid1(VALU_DEP_1)
	v_add_co_u32 v2, s2, v0, v2
	v_add_co_u32 v2, s2, v2, -1
; %bb.511:
	s_or_b32 exec_lo, exec_lo, s9
	v_add_nc_u32_e32 v3, 0xffffff81, v11
	v_lshrrev_b32_e32 v11, 23, v0
	s_delay_alu instid0(VALU_DEP_3) | instskip(SKIP_1) | instid1(VALU_DEP_3)
	v_and_b32_e32 v2, 0xfffff, v2
	s_mov_b32 s2, exec_lo
	v_cndmask_b32_e64 v3, v3, 0xffffff82, vcc_lo
	s_delay_alu instid0(VALU_DEP_2) | instskip(SKIP_1) | instid1(VALU_DEP_3)
	v_add_co_u32 v0, vcc_lo, v2, v0
	v_add_co_ci_u32_e32 v1, vcc_lo, 0, v1, vcc_lo
	v_add3_u32 v3, v21, v3, v11
                                        ; implicit-def: $vgpr2
	s_delay_alu instid0(VALU_DEP_1) | instskip(NEXT) | instid1(VALU_DEP_1)
	v_add_nc_u32_e32 v11, 6, v3
	v_cmpx_ne_u32_e32 0, v11
	s_xor_b32 s2, exec_lo, s2
; %bb.512:
	v_cmp_lt_u64_e32 vcc_lo, 0xffffff, v[0:1]
	v_add_nc_u32_e32 v2, 7, v3
	v_cndmask_b32_e64 v3, 0, 1, vcc_lo
	s_delay_alu instid0(VALU_DEP_2) | instskip(NEXT) | instid1(VALU_DEP_2)
	v_cndmask_b32_e32 v2, v11, v2, vcc_lo
	v_lshrrev_b64 v[0:1], v3, v[0:1]
; %bb.513:
	s_and_not1_saveexec_b32 s2, s2
; %bb.514:
	s_delay_alu instid0(VALU_DEP_1)
	v_bfe_u32 v2, v0, 23, 1
; %bb.515:
	s_or_b32 exec_lo, exec_lo, s2
	s_delay_alu instid0(VALU_DEP_2) | instskip(NEXT) | instid1(VALU_DEP_2)
	v_lshrrev_b64 v[0:1], 20, v[0:1]
	v_cmp_gt_i32_e32 vcc_lo, 16, v2
	v_cmp_ne_u32_e64 s2, 0, v2
                                        ; implicit-def: $vgpr11
	s_delay_alu instid0(VALU_DEP_3) | instskip(NEXT) | instid1(VALU_DEP_1)
	v_dual_cndmask_b32 v1, 0, v1 :: v_dual_cndmask_b32 v0, 7, v0
	v_cmp_ne_u64_e32 vcc_lo, 0, v[0:1]
	s_delay_alu instid0(VALU_DEP_3) | instskip(NEXT) | instid1(SALU_CYCLE_1)
	s_or_b32 s2, s2, vcc_lo
	s_and_saveexec_b32 s9, s2
	s_delay_alu instid0(SALU_CYCLE_1)
	s_xor_b32 s2, exec_lo, s9
; %bb.516:
	v_min_i32_e32 v1, 15, v2
	s_delay_alu instid0(VALU_DEP_1) | instskip(NEXT) | instid1(VALU_DEP_1)
	v_lshl_or_b32 v1, v1, 3, v20
                                        ; implicit-def: $vgpr20
	v_and_or_b32 v11, v0, 7, v1
; %bb.517:
	s_and_not1_saveexec_b32 s2, s2
; %bb.518:
	v_mov_b32_e32 v11, v20
; %bb.519:
	s_or_b32 exec_lo, exec_lo, s2
.LBB13_520:
	s_delay_alu instid0(SALU_CYCLE_1)
	s_or_b32 exec_lo, exec_lo, s8
.LBB13_521:
	s_and_not1_saveexec_b32 s2, s5
	s_delay_alu instid0(SALU_CYCLE_1)
	s_or_b32 exec_lo, exec_lo, s2
                                        ; implicit-def: $vgpr3
                                        ; implicit-def: $vgpr0_vgpr1
.LBB13_522:
	s_and_not1_saveexec_b32 s2, s4
; %bb.523:
	v_cmp_eq_u64_e32 vcc_lo, 0, v[0:1]
	v_or_b32_e32 v2, 0x7f, v3
	s_delay_alu instid0(VALU_DEP_1)
	v_cndmask_b32_e32 v11, v2, v11, vcc_lo
; %bb.524:
	s_or_b32 exec_lo, exec_lo, s2
	v_dual_mul_f32 v0, s3, v12 :: v_dual_mov_b32 v1, 0
	s_mov_b32 s2, 0xc3e00000
	s_delay_alu instid0(VALU_DEP_1) | instid1(SALU_CYCLE_1)
	v_maxmin_f32 v2, v0, s2, 0x43e00000
	s_mov_b32 s2, exec_lo
	s_delay_alu instid0(VALU_DEP_2) | instskip(NEXT) | instid1(VALU_DEP_2)
	v_mov_b32_e32 v22, v1
	v_lshrrev_b32_e32 v3, 24, v2
	v_and_b32_e32 v21, 0x7f800000, v2
	v_and_b32_e32 v0, 0x7fffff, v2
	s_delay_alu instid0(VALU_DEP_3) | instskip(NEXT) | instid1(VALU_DEP_1)
	v_and_b32_e32 v20, 0x80, v3
	v_or_b32_e32 v12, 0x7e, v20
	s_delay_alu instid0(VALU_DEP_4)
	v_cmpx_ne_u64_e32 0x7f800000, v[21:22]
	s_xor_b32 s4, exec_lo, s2
	s_cbranch_execz .LBB13_540
; %bb.525:
	v_dual_mov_b32 v22, v1 :: v_dual_and_b32 v21, 0x7fffffff, v2
	s_mov_b32 s2, exec_lo
	s_delay_alu instid0(VALU_DEP_1)
	v_cmpx_gt_u64_e32 0x43e00001, v[21:22]
	s_xor_b32 s5, exec_lo, s2
	s_cbranch_execz .LBB13_539
; %bb.526:
	v_mov_b32_e32 v12, 0
	s_mov_b32 s8, exec_lo
	v_cmpx_ne_u32_e32 0, v2
	s_cbranch_execz .LBB13_538
; %bb.527:
	v_bfe_u32 v12, v2, 23, 8
	v_or_b32_e32 v22, 0x800000, v0
	s_delay_alu instid0(VALU_DEP_2) | instskip(SKIP_1) | instid1(VALU_DEP_2)
	v_sub_nc_u32_e32 v2, 0x79, v12
	v_cmp_gt_u32_e32 vcc_lo, 0x7a, v12
	v_cndmask_b32_e32 v2, 0, v2, vcc_lo
	v_cmp_eq_u32_e32 vcc_lo, 0, v12
	s_delay_alu instid0(VALU_DEP_2) | instskip(SKIP_1) | instid1(VALU_DEP_2)
	v_cndmask_b32_e64 v21, v2, 0x78, vcc_lo
	v_cndmask_b32_e32 v0, v22, v0, vcc_lo
	v_add_nc_u32_e32 v2, 20, v21
	v_add_nc_u32_e32 v22, 19, v21
	s_delay_alu instid0(VALU_DEP_2) | instskip(NEXT) | instid1(VALU_DEP_1)
	v_lshlrev_b64 v[2:3], v2, -1
	v_not_b32_e32 v24, v2
	s_delay_alu instid0(VALU_DEP_2) | instskip(NEXT) | instid1(VALU_DEP_4)
	v_not_b32_e32 v23, v3
	v_lshlrev_b64 v[2:3], v22, 1
	s_delay_alu instid0(VALU_DEP_3) | instskip(SKIP_1) | instid1(VALU_DEP_4)
	v_and_b32_e32 v22, v0, v24
	v_lshrrev_b64 v[0:1], v21, v[0:1]
	v_and_b32_e32 v23, 0, v23
	s_delay_alu instid0(VALU_DEP_1) | instskip(NEXT) | instid1(VALU_DEP_3)
	v_cmp_eq_u64_e64 s2, v[22:23], v[2:3]
	v_dual_mov_b32 v3, v1 :: v_dual_mov_b32 v2, v0
	s_delay_alu instid0(VALU_DEP_2)
	s_and_saveexec_b32 s9, s2
; %bb.528:
	v_bfe_u32 v2, v0, 20, 1
	s_delay_alu instid0(VALU_DEP_1) | instskip(NEXT) | instid1(VALU_DEP_1)
	v_add_co_u32 v2, s2, v0, v2
	v_add_co_u32 v2, s2, v2, -1
; %bb.529:
	s_or_b32 exec_lo, exec_lo, s9
	v_add_nc_u32_e32 v3, 0xffffff81, v12
	v_lshrrev_b32_e32 v12, 23, v0
	s_delay_alu instid0(VALU_DEP_3) | instskip(SKIP_1) | instid1(VALU_DEP_3)
	v_and_b32_e32 v2, 0xfffff, v2
	s_mov_b32 s2, exec_lo
	v_cndmask_b32_e64 v3, v3, 0xffffff82, vcc_lo
	s_delay_alu instid0(VALU_DEP_2) | instskip(SKIP_1) | instid1(VALU_DEP_3)
	v_add_co_u32 v0, vcc_lo, v2, v0
	v_add_co_ci_u32_e32 v1, vcc_lo, 0, v1, vcc_lo
	v_add3_u32 v3, v21, v3, v12
                                        ; implicit-def: $vgpr2
	s_delay_alu instid0(VALU_DEP_1) | instskip(NEXT) | instid1(VALU_DEP_1)
	v_add_nc_u32_e32 v12, 6, v3
	v_cmpx_ne_u32_e32 0, v12
	s_xor_b32 s2, exec_lo, s2
; %bb.530:
	v_cmp_lt_u64_e32 vcc_lo, 0xffffff, v[0:1]
	v_add_nc_u32_e32 v2, 7, v3
	v_cndmask_b32_e64 v3, 0, 1, vcc_lo
	s_delay_alu instid0(VALU_DEP_2) | instskip(NEXT) | instid1(VALU_DEP_2)
	v_cndmask_b32_e32 v2, v12, v2, vcc_lo
	v_lshrrev_b64 v[0:1], v3, v[0:1]
; %bb.531:
	s_and_not1_saveexec_b32 s2, s2
; %bb.532:
	s_delay_alu instid0(VALU_DEP_1)
	v_bfe_u32 v2, v0, 23, 1
; %bb.533:
	s_or_b32 exec_lo, exec_lo, s2
	s_delay_alu instid0(VALU_DEP_2) | instskip(NEXT) | instid1(VALU_DEP_2)
	v_lshrrev_b64 v[0:1], 20, v[0:1]
	v_cmp_gt_i32_e32 vcc_lo, 16, v2
	v_cmp_ne_u32_e64 s2, 0, v2
                                        ; implicit-def: $vgpr12
	s_delay_alu instid0(VALU_DEP_3) | instskip(NEXT) | instid1(VALU_DEP_1)
	v_dual_cndmask_b32 v1, 0, v1 :: v_dual_cndmask_b32 v0, 7, v0
	v_cmp_ne_u64_e32 vcc_lo, 0, v[0:1]
	s_delay_alu instid0(VALU_DEP_3) | instskip(NEXT) | instid1(SALU_CYCLE_1)
	s_or_b32 s2, s2, vcc_lo
	s_and_saveexec_b32 s9, s2
	s_delay_alu instid0(SALU_CYCLE_1)
	s_xor_b32 s2, exec_lo, s9
; %bb.534:
	v_min_i32_e32 v1, 15, v2
	s_delay_alu instid0(VALU_DEP_1) | instskip(NEXT) | instid1(VALU_DEP_1)
	v_lshl_or_b32 v1, v1, 3, v20
                                        ; implicit-def: $vgpr20
	v_and_or_b32 v12, v0, 7, v1
; %bb.535:
	s_and_not1_saveexec_b32 s2, s2
; %bb.536:
	v_mov_b32_e32 v12, v20
; %bb.537:
	s_or_b32 exec_lo, exec_lo, s2
.LBB13_538:
	s_delay_alu instid0(SALU_CYCLE_1)
	s_or_b32 exec_lo, exec_lo, s8
.LBB13_539:
	s_and_not1_saveexec_b32 s2, s5
	s_delay_alu instid0(SALU_CYCLE_1)
	s_or_b32 exec_lo, exec_lo, s2
                                        ; implicit-def: $vgpr3
                                        ; implicit-def: $vgpr0_vgpr1
.LBB13_540:
	s_and_not1_saveexec_b32 s2, s4
; %bb.541:
	v_cmp_eq_u64_e32 vcc_lo, 0, v[0:1]
	v_or_b32_e32 v2, 0x7f, v3
	s_delay_alu instid0(VALU_DEP_1)
	v_cndmask_b32_e32 v12, v2, v12, vcc_lo
; %bb.542:
	s_or_b32 exec_lo, exec_lo, s2
	v_dual_mul_f32 v0, s3, v13 :: v_dual_mov_b32 v1, 0
	s_mov_b32 s2, 0xc3e00000
	s_delay_alu instid0(VALU_DEP_1) | instid1(SALU_CYCLE_1)
	v_maxmin_f32 v2, v0, s2, 0x43e00000
	s_mov_b32 s2, exec_lo
	s_delay_alu instid0(VALU_DEP_2) | instskip(NEXT) | instid1(VALU_DEP_2)
	v_mov_b32_e32 v22, v1
	v_lshrrev_b32_e32 v3, 24, v2
	v_and_b32_e32 v21, 0x7f800000, v2
	v_and_b32_e32 v0, 0x7fffff, v2
	s_delay_alu instid0(VALU_DEP_3) | instskip(NEXT) | instid1(VALU_DEP_1)
	v_and_b32_e32 v20, 0x80, v3
	v_or_b32_e32 v13, 0x7e, v20
	s_delay_alu instid0(VALU_DEP_4)
	v_cmpx_ne_u64_e32 0x7f800000, v[21:22]
	s_xor_b32 s4, exec_lo, s2
	s_cbranch_execz .LBB13_558
; %bb.543:
	v_dual_mov_b32 v22, v1 :: v_dual_and_b32 v21, 0x7fffffff, v2
	s_mov_b32 s2, exec_lo
	s_delay_alu instid0(VALU_DEP_1)
	v_cmpx_gt_u64_e32 0x43e00001, v[21:22]
	s_xor_b32 s5, exec_lo, s2
	s_cbranch_execz .LBB13_557
; %bb.544:
	v_mov_b32_e32 v13, 0
	s_mov_b32 s8, exec_lo
	v_cmpx_ne_u32_e32 0, v2
	s_cbranch_execz .LBB13_556
; %bb.545:
	v_bfe_u32 v13, v2, 23, 8
	v_or_b32_e32 v22, 0x800000, v0
	s_delay_alu instid0(VALU_DEP_2) | instskip(SKIP_1) | instid1(VALU_DEP_2)
	v_sub_nc_u32_e32 v2, 0x79, v13
	v_cmp_gt_u32_e32 vcc_lo, 0x7a, v13
	v_cndmask_b32_e32 v2, 0, v2, vcc_lo
	v_cmp_eq_u32_e32 vcc_lo, 0, v13
	s_delay_alu instid0(VALU_DEP_2) | instskip(SKIP_1) | instid1(VALU_DEP_2)
	v_cndmask_b32_e64 v21, v2, 0x78, vcc_lo
	v_cndmask_b32_e32 v0, v22, v0, vcc_lo
	v_add_nc_u32_e32 v2, 20, v21
	v_add_nc_u32_e32 v22, 19, v21
	s_delay_alu instid0(VALU_DEP_2) | instskip(NEXT) | instid1(VALU_DEP_1)
	v_lshlrev_b64 v[2:3], v2, -1
	v_not_b32_e32 v24, v2
	s_delay_alu instid0(VALU_DEP_2) | instskip(NEXT) | instid1(VALU_DEP_4)
	v_not_b32_e32 v23, v3
	v_lshlrev_b64 v[2:3], v22, 1
	s_delay_alu instid0(VALU_DEP_3) | instskip(SKIP_1) | instid1(VALU_DEP_4)
	v_and_b32_e32 v22, v0, v24
	v_lshrrev_b64 v[0:1], v21, v[0:1]
	v_and_b32_e32 v23, 0, v23
	s_delay_alu instid0(VALU_DEP_1) | instskip(NEXT) | instid1(VALU_DEP_3)
	v_cmp_eq_u64_e64 s2, v[22:23], v[2:3]
	v_dual_mov_b32 v3, v1 :: v_dual_mov_b32 v2, v0
	s_delay_alu instid0(VALU_DEP_2)
	s_and_saveexec_b32 s9, s2
; %bb.546:
	v_bfe_u32 v2, v0, 20, 1
	s_delay_alu instid0(VALU_DEP_1) | instskip(NEXT) | instid1(VALU_DEP_1)
	v_add_co_u32 v2, s2, v0, v2
	v_add_co_u32 v2, s2, v2, -1
; %bb.547:
	s_or_b32 exec_lo, exec_lo, s9
	v_add_nc_u32_e32 v3, 0xffffff81, v13
	v_lshrrev_b32_e32 v13, 23, v0
	s_delay_alu instid0(VALU_DEP_3) | instskip(SKIP_1) | instid1(VALU_DEP_3)
	v_and_b32_e32 v2, 0xfffff, v2
	s_mov_b32 s2, exec_lo
	v_cndmask_b32_e64 v3, v3, 0xffffff82, vcc_lo
	s_delay_alu instid0(VALU_DEP_2) | instskip(SKIP_1) | instid1(VALU_DEP_3)
	v_add_co_u32 v0, vcc_lo, v2, v0
	v_add_co_ci_u32_e32 v1, vcc_lo, 0, v1, vcc_lo
	v_add3_u32 v3, v21, v3, v13
                                        ; implicit-def: $vgpr2
	s_delay_alu instid0(VALU_DEP_1) | instskip(NEXT) | instid1(VALU_DEP_1)
	v_add_nc_u32_e32 v13, 6, v3
	v_cmpx_ne_u32_e32 0, v13
	s_xor_b32 s2, exec_lo, s2
; %bb.548:
	v_cmp_lt_u64_e32 vcc_lo, 0xffffff, v[0:1]
	v_add_nc_u32_e32 v2, 7, v3
	v_cndmask_b32_e64 v3, 0, 1, vcc_lo
	s_delay_alu instid0(VALU_DEP_2) | instskip(NEXT) | instid1(VALU_DEP_2)
	v_cndmask_b32_e32 v2, v13, v2, vcc_lo
	v_lshrrev_b64 v[0:1], v3, v[0:1]
; %bb.549:
	s_and_not1_saveexec_b32 s2, s2
; %bb.550:
	s_delay_alu instid0(VALU_DEP_1)
	v_bfe_u32 v2, v0, 23, 1
; %bb.551:
	s_or_b32 exec_lo, exec_lo, s2
	s_delay_alu instid0(VALU_DEP_2) | instskip(NEXT) | instid1(VALU_DEP_2)
	v_lshrrev_b64 v[0:1], 20, v[0:1]
	v_cmp_gt_i32_e32 vcc_lo, 16, v2
	v_cmp_ne_u32_e64 s2, 0, v2
                                        ; implicit-def: $vgpr13
	s_delay_alu instid0(VALU_DEP_3) | instskip(NEXT) | instid1(VALU_DEP_1)
	v_dual_cndmask_b32 v1, 0, v1 :: v_dual_cndmask_b32 v0, 7, v0
	v_cmp_ne_u64_e32 vcc_lo, 0, v[0:1]
	s_delay_alu instid0(VALU_DEP_3) | instskip(NEXT) | instid1(SALU_CYCLE_1)
	s_or_b32 s2, s2, vcc_lo
	s_and_saveexec_b32 s9, s2
	s_delay_alu instid0(SALU_CYCLE_1)
	s_xor_b32 s2, exec_lo, s9
; %bb.552:
	v_min_i32_e32 v1, 15, v2
	s_delay_alu instid0(VALU_DEP_1) | instskip(NEXT) | instid1(VALU_DEP_1)
	v_lshl_or_b32 v1, v1, 3, v20
                                        ; implicit-def: $vgpr20
	v_and_or_b32 v13, v0, 7, v1
; %bb.553:
	s_and_not1_saveexec_b32 s2, s2
; %bb.554:
	v_mov_b32_e32 v13, v20
; %bb.555:
	s_or_b32 exec_lo, exec_lo, s2
.LBB13_556:
	s_delay_alu instid0(SALU_CYCLE_1)
	s_or_b32 exec_lo, exec_lo, s8
.LBB13_557:
	s_and_not1_saveexec_b32 s2, s5
	s_delay_alu instid0(SALU_CYCLE_1)
	s_or_b32 exec_lo, exec_lo, s2
                                        ; implicit-def: $vgpr3
                                        ; implicit-def: $vgpr0_vgpr1
.LBB13_558:
	s_and_not1_saveexec_b32 s2, s4
; %bb.559:
	v_cmp_eq_u64_e32 vcc_lo, 0, v[0:1]
	v_or_b32_e32 v2, 0x7f, v3
	s_delay_alu instid0(VALU_DEP_1)
	v_cndmask_b32_e32 v13, v2, v13, vcc_lo
; %bb.560:
	s_or_b32 exec_lo, exec_lo, s2
	v_dual_mul_f32 v0, s3, v14 :: v_dual_mov_b32 v1, 0
	s_mov_b32 s2, 0xc3e00000
	s_delay_alu instid0(VALU_DEP_1) | instid1(SALU_CYCLE_1)
	v_maxmin_f32 v2, v0, s2, 0x43e00000
	s_mov_b32 s2, exec_lo
	s_delay_alu instid0(VALU_DEP_2) | instskip(NEXT) | instid1(VALU_DEP_2)
	v_mov_b32_e32 v22, v1
	v_lshrrev_b32_e32 v3, 24, v2
	v_and_b32_e32 v21, 0x7f800000, v2
	v_and_b32_e32 v0, 0x7fffff, v2
	s_delay_alu instid0(VALU_DEP_3) | instskip(NEXT) | instid1(VALU_DEP_1)
	v_and_b32_e32 v20, 0x80, v3
	v_or_b32_e32 v14, 0x7e, v20
	s_delay_alu instid0(VALU_DEP_4)
	v_cmpx_ne_u64_e32 0x7f800000, v[21:22]
	s_xor_b32 s4, exec_lo, s2
	s_cbranch_execz .LBB13_576
; %bb.561:
	v_dual_mov_b32 v22, v1 :: v_dual_and_b32 v21, 0x7fffffff, v2
	s_mov_b32 s2, exec_lo
	s_delay_alu instid0(VALU_DEP_1)
	v_cmpx_gt_u64_e32 0x43e00001, v[21:22]
	s_xor_b32 s5, exec_lo, s2
	s_cbranch_execz .LBB13_575
; %bb.562:
	v_mov_b32_e32 v14, 0
	s_mov_b32 s8, exec_lo
	v_cmpx_ne_u32_e32 0, v2
	s_cbranch_execz .LBB13_574
; %bb.563:
	v_bfe_u32 v14, v2, 23, 8
	v_or_b32_e32 v22, 0x800000, v0
	s_delay_alu instid0(VALU_DEP_2) | instskip(SKIP_1) | instid1(VALU_DEP_2)
	v_sub_nc_u32_e32 v2, 0x79, v14
	v_cmp_gt_u32_e32 vcc_lo, 0x7a, v14
	v_cndmask_b32_e32 v2, 0, v2, vcc_lo
	v_cmp_eq_u32_e32 vcc_lo, 0, v14
	s_delay_alu instid0(VALU_DEP_2) | instskip(SKIP_1) | instid1(VALU_DEP_2)
	v_cndmask_b32_e64 v21, v2, 0x78, vcc_lo
	v_cndmask_b32_e32 v0, v22, v0, vcc_lo
	v_add_nc_u32_e32 v2, 20, v21
	v_add_nc_u32_e32 v22, 19, v21
	s_delay_alu instid0(VALU_DEP_2) | instskip(NEXT) | instid1(VALU_DEP_1)
	v_lshlrev_b64 v[2:3], v2, -1
	v_not_b32_e32 v24, v2
	s_delay_alu instid0(VALU_DEP_2) | instskip(NEXT) | instid1(VALU_DEP_4)
	v_not_b32_e32 v23, v3
	v_lshlrev_b64 v[2:3], v22, 1
	s_delay_alu instid0(VALU_DEP_3) | instskip(SKIP_1) | instid1(VALU_DEP_4)
	v_and_b32_e32 v22, v0, v24
	v_lshrrev_b64 v[0:1], v21, v[0:1]
	v_and_b32_e32 v23, 0, v23
	s_delay_alu instid0(VALU_DEP_1) | instskip(NEXT) | instid1(VALU_DEP_3)
	v_cmp_eq_u64_e64 s2, v[22:23], v[2:3]
	v_dual_mov_b32 v3, v1 :: v_dual_mov_b32 v2, v0
	s_delay_alu instid0(VALU_DEP_2)
	s_and_saveexec_b32 s9, s2
; %bb.564:
	v_bfe_u32 v2, v0, 20, 1
	s_delay_alu instid0(VALU_DEP_1) | instskip(NEXT) | instid1(VALU_DEP_1)
	v_add_co_u32 v2, s2, v0, v2
	v_add_co_u32 v2, s2, v2, -1
; %bb.565:
	s_or_b32 exec_lo, exec_lo, s9
	v_add_nc_u32_e32 v3, 0xffffff81, v14
	v_lshrrev_b32_e32 v14, 23, v0
	s_delay_alu instid0(VALU_DEP_3) | instskip(SKIP_1) | instid1(VALU_DEP_3)
	v_and_b32_e32 v2, 0xfffff, v2
	s_mov_b32 s2, exec_lo
	v_cndmask_b32_e64 v3, v3, 0xffffff82, vcc_lo
	s_delay_alu instid0(VALU_DEP_2) | instskip(SKIP_1) | instid1(VALU_DEP_3)
	v_add_co_u32 v0, vcc_lo, v2, v0
	v_add_co_ci_u32_e32 v1, vcc_lo, 0, v1, vcc_lo
	v_add3_u32 v3, v21, v3, v14
                                        ; implicit-def: $vgpr2
	s_delay_alu instid0(VALU_DEP_1) | instskip(NEXT) | instid1(VALU_DEP_1)
	v_add_nc_u32_e32 v14, 6, v3
	v_cmpx_ne_u32_e32 0, v14
	s_xor_b32 s2, exec_lo, s2
; %bb.566:
	v_cmp_lt_u64_e32 vcc_lo, 0xffffff, v[0:1]
	v_add_nc_u32_e32 v2, 7, v3
	v_cndmask_b32_e64 v3, 0, 1, vcc_lo
	s_delay_alu instid0(VALU_DEP_2) | instskip(NEXT) | instid1(VALU_DEP_2)
	v_cndmask_b32_e32 v2, v14, v2, vcc_lo
	v_lshrrev_b64 v[0:1], v3, v[0:1]
; %bb.567:
	s_and_not1_saveexec_b32 s2, s2
; %bb.568:
	s_delay_alu instid0(VALU_DEP_1)
	v_bfe_u32 v2, v0, 23, 1
; %bb.569:
	s_or_b32 exec_lo, exec_lo, s2
	s_delay_alu instid0(VALU_DEP_2) | instskip(NEXT) | instid1(VALU_DEP_2)
	v_lshrrev_b64 v[0:1], 20, v[0:1]
	v_cmp_gt_i32_e32 vcc_lo, 16, v2
	v_cmp_ne_u32_e64 s2, 0, v2
                                        ; implicit-def: $vgpr14
	s_delay_alu instid0(VALU_DEP_3) | instskip(NEXT) | instid1(VALU_DEP_1)
	v_dual_cndmask_b32 v1, 0, v1 :: v_dual_cndmask_b32 v0, 7, v0
	v_cmp_ne_u64_e32 vcc_lo, 0, v[0:1]
	s_delay_alu instid0(VALU_DEP_3) | instskip(NEXT) | instid1(SALU_CYCLE_1)
	s_or_b32 s2, s2, vcc_lo
	s_and_saveexec_b32 s9, s2
	s_delay_alu instid0(SALU_CYCLE_1)
	s_xor_b32 s2, exec_lo, s9
; %bb.570:
	v_min_i32_e32 v1, 15, v2
	s_delay_alu instid0(VALU_DEP_1) | instskip(NEXT) | instid1(VALU_DEP_1)
	v_lshl_or_b32 v1, v1, 3, v20
                                        ; implicit-def: $vgpr20
	v_and_or_b32 v14, v0, 7, v1
; %bb.571:
	s_and_not1_saveexec_b32 s2, s2
; %bb.572:
	v_mov_b32_e32 v14, v20
; %bb.573:
	s_or_b32 exec_lo, exec_lo, s2
.LBB13_574:
	s_delay_alu instid0(SALU_CYCLE_1)
	s_or_b32 exec_lo, exec_lo, s8
.LBB13_575:
	s_and_not1_saveexec_b32 s2, s5
	s_delay_alu instid0(SALU_CYCLE_1)
	s_or_b32 exec_lo, exec_lo, s2
                                        ; implicit-def: $vgpr3
                                        ; implicit-def: $vgpr0_vgpr1
.LBB13_576:
	s_and_not1_saveexec_b32 s2, s4
; %bb.577:
	v_cmp_eq_u64_e32 vcc_lo, 0, v[0:1]
	v_or_b32_e32 v2, 0x7f, v3
	s_delay_alu instid0(VALU_DEP_1)
	v_cndmask_b32_e32 v14, v2, v14, vcc_lo
; %bb.578:
	s_or_b32 exec_lo, exec_lo, s2
	v_dual_mul_f32 v0, s3, v15 :: v_dual_mov_b32 v1, 0
	s_mov_b32 s2, 0xc3e00000
	s_delay_alu instid0(VALU_DEP_1) | instid1(SALU_CYCLE_1)
	v_maxmin_f32 v3, v0, s2, 0x43e00000
	s_mov_b32 s2, exec_lo
	s_delay_alu instid0(VALU_DEP_2) | instskip(NEXT) | instid1(VALU_DEP_2)
	v_mov_b32_e32 v22, v1
	v_lshrrev_b32_e32 v20, 24, v3
	v_and_b32_e32 v21, 0x7f800000, v3
	v_and_b32_e32 v0, 0x7fffff, v3
	s_delay_alu instid0(VALU_DEP_3) | instskip(NEXT) | instid1(VALU_DEP_1)
	v_and_b32_e32 v15, 0x80, v20
	v_or_b32_e32 v2, 0x7e, v15
	s_delay_alu instid0(VALU_DEP_4)
	v_cmpx_ne_u64_e32 0x7f800000, v[21:22]
	s_xor_b32 s3, exec_lo, s2
	s_cbranch_execz .LBB13_594
; %bb.579:
	v_dual_mov_b32 v21, v1 :: v_dual_and_b32 v20, 0x7fffffff, v3
	s_mov_b32 s2, exec_lo
	s_delay_alu instid0(VALU_DEP_1)
	v_cmpx_gt_u64_e32 0x43e00001, v[20:21]
	s_xor_b32 s4, exec_lo, s2
	s_cbranch_execz .LBB13_593
; %bb.580:
	v_mov_b32_e32 v2, 0
	s_mov_b32 s5, exec_lo
	v_cmpx_ne_u32_e32 0, v3
	s_cbranch_execz .LBB13_592
; %bb.581:
	v_bfe_u32 v20, v3, 23, 8
	v_or_b32_e32 v22, 0x800000, v0
	s_delay_alu instid0(VALU_DEP_2) | instskip(SKIP_1) | instid1(VALU_DEP_2)
	v_sub_nc_u32_e32 v2, 0x79, v20
	v_cmp_gt_u32_e32 vcc_lo, 0x7a, v20
	v_cndmask_b32_e32 v2, 0, v2, vcc_lo
	v_cmp_eq_u32_e32 vcc_lo, 0, v20
	s_delay_alu instid0(VALU_DEP_2) | instskip(SKIP_1) | instid1(VALU_DEP_2)
	v_cndmask_b32_e64 v21, v2, 0x78, vcc_lo
	v_cndmask_b32_e32 v0, v22, v0, vcc_lo
	v_add_nc_u32_e32 v2, 20, v21
	v_add_nc_u32_e32 v22, 19, v21
	s_delay_alu instid0(VALU_DEP_2) | instskip(NEXT) | instid1(VALU_DEP_1)
	v_lshlrev_b64 v[2:3], v2, -1
	v_not_b32_e32 v24, v2
	s_delay_alu instid0(VALU_DEP_2) | instskip(NEXT) | instid1(VALU_DEP_4)
	v_not_b32_e32 v23, v3
	v_lshlrev_b64 v[2:3], v22, 1
	s_delay_alu instid0(VALU_DEP_3) | instskip(SKIP_1) | instid1(VALU_DEP_4)
	v_and_b32_e32 v22, v0, v24
	v_lshrrev_b64 v[0:1], v21, v[0:1]
	v_and_b32_e32 v23, 0, v23
	s_delay_alu instid0(VALU_DEP_1) | instskip(NEXT) | instid1(VALU_DEP_3)
	v_cmp_eq_u64_e64 s2, v[22:23], v[2:3]
	v_dual_mov_b32 v3, v1 :: v_dual_mov_b32 v2, v0
	s_delay_alu instid0(VALU_DEP_2)
	s_and_saveexec_b32 s8, s2
; %bb.582:
	v_bfe_u32 v2, v0, 20, 1
	s_delay_alu instid0(VALU_DEP_1) | instskip(NEXT) | instid1(VALU_DEP_1)
	v_add_co_u32 v2, s2, v0, v2
	v_add_co_u32 v2, s2, v2, -1
; %bb.583:
	s_or_b32 exec_lo, exec_lo, s8
	v_add_nc_u32_e32 v3, 0xffffff81, v20
	v_lshrrev_b32_e32 v20, 23, v0
	s_mov_b32 s2, exec_lo
	s_delay_alu instid0(VALU_DEP_2) | instskip(NEXT) | instid1(VALU_DEP_1)
	v_cndmask_b32_e64 v3, v3, 0xffffff82, vcc_lo
	v_add3_u32 v20, v21, v3, v20
	v_and_b32_e32 v3, 0xfffff, v2
	s_delay_alu instid0(VALU_DEP_2) | instskip(NEXT) | instid1(VALU_DEP_2)
	v_add_nc_u32_e32 v2, 6, v20
	v_add_co_u32 v0, vcc_lo, v3, v0
	v_add_co_ci_u32_e32 v1, vcc_lo, 0, v1, vcc_lo
                                        ; implicit-def: $vgpr3
	s_delay_alu instid0(VALU_DEP_3)
	v_cmpx_ne_u32_e32 0, v2
	s_xor_b32 s2, exec_lo, s2
; %bb.584:
	s_delay_alu instid0(VALU_DEP_2) | instskip(SKIP_1) | instid1(VALU_DEP_1)
	v_cmp_lt_u64_e32 vcc_lo, 0xffffff, v[0:1]
	v_add_nc_u32_e32 v3, 7, v20
	v_cndmask_b32_e32 v3, v2, v3, vcc_lo
	v_cndmask_b32_e64 v2, 0, 1, vcc_lo
	s_delay_alu instid0(VALU_DEP_1)
	v_lshrrev_b64 v[0:1], v2, v[0:1]
; %bb.585:
	s_and_not1_saveexec_b32 s2, s2
; %bb.586:
	s_delay_alu instid0(VALU_DEP_1)
	v_bfe_u32 v3, v0, 23, 1
; %bb.587:
	s_or_b32 exec_lo, exec_lo, s2
	s_delay_alu instid0(VALU_DEP_2) | instskip(NEXT) | instid1(VALU_DEP_2)
	v_lshrrev_b64 v[0:1], 20, v[0:1]
	v_cmp_gt_i32_e32 vcc_lo, 16, v3
	v_cmp_ne_u32_e64 s2, 0, v3
                                        ; implicit-def: $vgpr2
	s_delay_alu instid0(VALU_DEP_3) | instskip(NEXT) | instid1(VALU_DEP_1)
	v_dual_cndmask_b32 v1, 0, v1 :: v_dual_cndmask_b32 v0, 7, v0
	v_cmp_ne_u64_e32 vcc_lo, 0, v[0:1]
	s_delay_alu instid0(VALU_DEP_3) | instskip(NEXT) | instid1(SALU_CYCLE_1)
	s_or_b32 s2, s2, vcc_lo
	s_and_saveexec_b32 s8, s2
	s_delay_alu instid0(SALU_CYCLE_1)
	s_xor_b32 s2, exec_lo, s8
; %bb.588:
	v_min_i32_e32 v1, 15, v3
	s_delay_alu instid0(VALU_DEP_1) | instskip(NEXT) | instid1(VALU_DEP_1)
	v_lshl_or_b32 v1, v1, 3, v15
                                        ; implicit-def: $vgpr15
	v_and_or_b32 v2, v0, 7, v1
; %bb.589:
	s_and_not1_saveexec_b32 s2, s2
; %bb.590:
	v_mov_b32_e32 v2, v15
; %bb.591:
	s_or_b32 exec_lo, exec_lo, s2
.LBB13_592:
	s_delay_alu instid0(SALU_CYCLE_1)
	s_or_b32 exec_lo, exec_lo, s5
.LBB13_593:
	s_and_not1_saveexec_b32 s2, s4
	s_delay_alu instid0(SALU_CYCLE_1)
	s_or_b32 exec_lo, exec_lo, s2
                                        ; implicit-def: $vgpr20
                                        ; implicit-def: $vgpr0_vgpr1
.LBB13_594:
	s_or_saveexec_b32 s2, s3
	s_load_b64 s[4:5], s[0:1], 0x8
	s_xor_b32 exec_lo, exec_lo, s2
; %bb.595:
	v_cmp_eq_u64_e32 vcc_lo, 0, v[0:1]
	v_or_b32_e32 v3, 0x7f, v20
	s_delay_alu instid0(VALU_DEP_1)
	v_cndmask_b32_e32 v2, v3, v2, vcc_lo
; %bb.596:
	s_or_b32 exec_lo, exec_lo, s2
	s_load_b128 s[0:3], s[0:1], 0x10
	v_lshlrev_b16 v3, 8, v19
	v_and_b32_e32 v15, 0xff, v18
	v_lshlrev_b16 v17, 8, v17
	v_and_b32_e32 v16, 0xff, v16
	;; [unrolled: 2-line block ×8, first 2 shown]
	v_or_b32_e32 v3, v15, v3
	v_or_b32_e32 v15, v16, v17
	;; [unrolled: 1-line block ×3, first 2 shown]
	s_waitcnt lgkmcnt(0)
	v_mad_u64_u32 v[0:1], null, v33, s0, s[4:5]
	v_mul_lo_u32 v18, v33, s1
	v_mul_lo_u32 v19, v34, s0
	v_or_b32_e32 v5, v6, v7
	v_or_b32_e32 v6, v8, v9
	;; [unrolled: 1-line block ×3, first 2 shown]
	v_mul_lo_u32 v8, v31, s3
	v_mul_lo_u32 v9, v32, s2
	v_and_b32_e32 v3, 0xffff, v3
	v_lshlrev_b32_e32 v7, 16, v15
	v_add3_u32 v1, v19, v1, v18
	v_and_b32_e32 v4, 0xffff, v4
	v_lshlrev_b32_e32 v5, 16, v5
	v_and_b32_e32 v6, 0xffff, v6
	v_lshlrev_b32_e32 v2, 16, v2
	v_mad_u64_u32 v[20:21], null, v31, s2, v[0:1]
	v_or_b32_e32 v0, v10, v11
	v_or_b32_e32 v1, v12, v13
	;; [unrolled: 1-line block ×4, first 2 shown]
	s_or_b32 s6, s6, exec_lo
	v_lshlrev_b32_e32 v0, 16, v0
	v_and_b32_e32 v1, 0xffff, v1
	v_add3_u32 v21, v9, v21, v8
	s_delay_alu instid0(VALU_DEP_3) | instskip(NEXT) | instid1(VALU_DEP_3)
	v_or_b32_e32 v18, v6, v0
	v_or_b32_e32 v19, v1, v2
	s_or_b32 exec_lo, exec_lo, s7
	s_delay_alu instid0(SALU_CYCLE_1)
	s_and_b32 exec_lo, exec_lo, s6
	s_cbranch_execnz .LBB13_11
	s_branch .LBB13_12
	.section	.rodata,"a",@progbits
	.p2align	6, 0x0
	.amdhsa_kernel _ZN4vllm21deepseek_v4_fused_ops30fusedDeepseekV4FullCacheKernelIN3c108BFloat16ELb1ELb1EEEvPT_PhllPKS4_S6_PKlSA_PKfSC_SC_fiiiill
		.amdhsa_group_segment_fixed_size 0
		.amdhsa_private_segment_fixed_size 0
		.amdhsa_kernarg_size 384
		.amdhsa_user_sgpr_count 15
		.amdhsa_user_sgpr_dispatch_ptr 0
		.amdhsa_user_sgpr_queue_ptr 0
		.amdhsa_user_sgpr_kernarg_segment_ptr 1
		.amdhsa_user_sgpr_dispatch_id 0
		.amdhsa_user_sgpr_private_segment_size 0
		.amdhsa_wavefront_size32 1
		.amdhsa_uses_dynamic_stack 0
		.amdhsa_enable_private_segment 0
		.amdhsa_system_sgpr_workgroup_id_x 1
		.amdhsa_system_sgpr_workgroup_id_y 0
		.amdhsa_system_sgpr_workgroup_id_z 0
		.amdhsa_system_sgpr_workgroup_info 0
		.amdhsa_system_vgpr_workitem_id 0
		.amdhsa_next_free_vgpr 54
		.amdhsa_next_free_sgpr 16
		.amdhsa_reserve_vcc 1
		.amdhsa_float_round_mode_32 0
		.amdhsa_float_round_mode_16_64 0
		.amdhsa_float_denorm_mode_32 3
		.amdhsa_float_denorm_mode_16_64 3
		.amdhsa_dx10_clamp 1
		.amdhsa_ieee_mode 1
		.amdhsa_fp16_overflow 0
		.amdhsa_workgroup_processor_mode 1
		.amdhsa_memory_ordered 1
		.amdhsa_forward_progress 0
		.amdhsa_shared_vgpr_count 0
		.amdhsa_exception_fp_ieee_invalid_op 0
		.amdhsa_exception_fp_denorm_src 0
		.amdhsa_exception_fp_ieee_div_zero 0
		.amdhsa_exception_fp_ieee_overflow 0
		.amdhsa_exception_fp_ieee_underflow 0
		.amdhsa_exception_fp_ieee_inexact 0
		.amdhsa_exception_int_div_zero 0
	.end_amdhsa_kernel
	.section	.text._ZN4vllm21deepseek_v4_fused_ops30fusedDeepseekV4FullCacheKernelIN3c108BFloat16ELb1ELb1EEEvPT_PhllPKS4_S6_PKlSA_PKfSC_SC_fiiiill,"axG",@progbits,_ZN4vllm21deepseek_v4_fused_ops30fusedDeepseekV4FullCacheKernelIN3c108BFloat16ELb1ELb1EEEvPT_PhllPKS4_S6_PKlSA_PKfSC_SC_fiiiill,comdat
.Lfunc_end13:
	.size	_ZN4vllm21deepseek_v4_fused_ops30fusedDeepseekV4FullCacheKernelIN3c108BFloat16ELb1ELb1EEEvPT_PhllPKS4_S6_PKlSA_PKfSC_SC_fiiiill, .Lfunc_end13-_ZN4vllm21deepseek_v4_fused_ops30fusedDeepseekV4FullCacheKernelIN3c108BFloat16ELb1ELb1EEEvPT_PhllPKS4_S6_PKlSA_PKfSC_SC_fiiiill
                                        ; -- End function
	.section	.AMDGPU.csdata,"",@progbits
; Kernel info:
; codeLenInByte = 23276
; NumSgprs: 18
; NumVgprs: 54
; ScratchSize: 0
; MemoryBound: 0
; FloatMode: 240
; IeeeMode: 1
; LDSByteSize: 0 bytes/workgroup (compile time only)
; SGPRBlocks: 2
; VGPRBlocks: 6
; NumSGPRsForWavesPerEU: 18
; NumVGPRsForWavesPerEU: 54
; Occupancy: 16
; WaveLimiterHint : 1
; COMPUTE_PGM_RSRC2:SCRATCH_EN: 0
; COMPUTE_PGM_RSRC2:USER_SGPR: 15
; COMPUTE_PGM_RSRC2:TRAP_HANDLER: 0
; COMPUTE_PGM_RSRC2:TGID_X_EN: 1
; COMPUTE_PGM_RSRC2:TGID_Y_EN: 0
; COMPUTE_PGM_RSRC2:TGID_Z_EN: 0
; COMPUTE_PGM_RSRC2:TIDIG_COMP_CNT: 0
	.text
	.p2alignl 7, 3214868480
	.fill 96, 4, 3214868480
	.type	__hip_cuid_432c82ae11133ed3,@object ; @__hip_cuid_432c82ae11133ed3
	.section	.bss,"aw",@nobits
	.globl	__hip_cuid_432c82ae11133ed3
__hip_cuid_432c82ae11133ed3:
	.byte	0                               ; 0x0
	.size	__hip_cuid_432c82ae11133ed3, 1

	.ident	"AMD clang version 19.0.0git (https://github.com/RadeonOpenCompute/llvm-project roc-6.4.0 25133 c7fe45cf4b819c5991fe208aaa96edf142730f1d)"
	.section	".note.GNU-stack","",@progbits
	.addrsig
	.addrsig_sym __hip_cuid_432c82ae11133ed3
	.amdgpu_metadata
---
amdhsa.kernels:
  - .args:
      - .actual_access:  read_only
        .address_space:  global
        .offset:         0
        .size:           8
        .value_kind:     global_buffer
      - .actual_access:  write_only
        .address_space:  global
        .offset:         8
        .size:           8
        .value_kind:     global_buffer
      - .actual_access:  read_only
        .address_space:  global
        .offset:         16
        .size:           8
        .value_kind:     global_buffer
      - .actual_access:  write_only
        .address_space:  global
        .offset:         24
        .size:           8
        .value_kind:     global_buffer
      - .actual_access:  read_only
        .address_space:  global
        .offset:         32
        .size:           8
        .value_kind:     global_buffer
      - .actual_access:  read_only
        .address_space:  global
        .offset:         40
        .size:           8
        .value_kind:     global_buffer
      - .actual_access:  read_only
        .address_space:  global
        .offset:         48
        .size:           8
        .value_kind:     global_buffer
      - .offset:         56
        .size:           4
        .value_kind:     by_value
      - .offset:         60
        .size:           4
        .value_kind:     by_value
      - .offset:         64
        .size:           4
        .value_kind:     by_value
      - .offset:         68
        .size:           4
        .value_kind:     by_value
      - .offset:         72
        .size:           4
        .value_kind:     by_value
      - .offset:         76
        .size:           4
        .value_kind:     by_value
      - .offset:         80
        .size:           4
        .value_kind:     hidden_block_count_x
      - .offset:         84
        .size:           4
        .value_kind:     hidden_block_count_y
      - .offset:         88
        .size:           4
        .value_kind:     hidden_block_count_z
      - .offset:         92
        .size:           2
        .value_kind:     hidden_group_size_x
      - .offset:         94
        .size:           2
        .value_kind:     hidden_group_size_y
      - .offset:         96
        .size:           2
        .value_kind:     hidden_group_size_z
      - .offset:         98
        .size:           2
        .value_kind:     hidden_remainder_x
      - .offset:         100
        .size:           2
        .value_kind:     hidden_remainder_y
      - .offset:         102
        .size:           2
        .value_kind:     hidden_remainder_z
      - .offset:         120
        .size:           8
        .value_kind:     hidden_global_offset_x
      - .offset:         128
        .size:           8
        .value_kind:     hidden_global_offset_y
      - .offset:         136
        .size:           8
        .value_kind:     hidden_global_offset_z
      - .offset:         144
        .size:           2
        .value_kind:     hidden_grid_dims
    .group_segment_fixed_size: 0
    .kernarg_segment_align: 8
    .kernarg_segment_size: 336
    .language:       OpenCL C
    .language_version:
      - 2
      - 0
    .max_flat_workgroup_size: 1024
    .name:           _ZN4vllm21deepseek_v4_fused_ops47fusedDeepseekV4QNormRopeKVRopeQuantInsertKernelIN3c104HalfELi8EEEvPKT_PS4_S6_PhPKlSA_PKffiiiii
    .private_segment_fixed_size: 0
    .sgpr_count:     24
    .sgpr_spill_count: 0
    .symbol:         _ZN4vllm21deepseek_v4_fused_ops47fusedDeepseekV4QNormRopeKVRopeQuantInsertKernelIN3c104HalfELi8EEEvPKT_PS4_S6_PhPKlSA_PKffiiiii.kd
    .uniform_work_group_size: 1
    .uses_dynamic_stack: false
    .vgpr_count:     49
    .vgpr_spill_count: 0
    .wavefront_size: 32
    .workgroup_processor_mode: 1
  - .args:
      - .actual_access:  read_only
        .address_space:  global
        .offset:         0
        .size:           8
        .value_kind:     global_buffer
      - .actual_access:  write_only
        .address_space:  global
        .offset:         8
        .size:           8
        .value_kind:     global_buffer
      - .actual_access:  read_only
        .address_space:  global
        .offset:         16
        .size:           8
        .value_kind:     global_buffer
      - .actual_access:  write_only
        .address_space:  global
        .offset:         24
        .size:           8
        .value_kind:     global_buffer
      - .actual_access:  read_only
        .address_space:  global
        .offset:         32
        .size:           8
        .value_kind:     global_buffer
      - .actual_access:  read_only
        .address_space:  global
        .offset:         40
        .size:           8
        .value_kind:     global_buffer
      - .actual_access:  read_only
        .address_space:  global
        .offset:         48
        .size:           8
        .value_kind:     global_buffer
      - .offset:         56
        .size:           4
        .value_kind:     by_value
      - .offset:         60
        .size:           4
        .value_kind:     by_value
      - .offset:         64
        .size:           4
        .value_kind:     by_value
      - .offset:         68
        .size:           4
        .value_kind:     by_value
      - .offset:         72
        .size:           4
        .value_kind:     by_value
      - .offset:         76
        .size:           4
        .value_kind:     by_value
      - .offset:         80
        .size:           4
        .value_kind:     hidden_block_count_x
      - .offset:         84
        .size:           4
        .value_kind:     hidden_block_count_y
      - .offset:         88
        .size:           4
        .value_kind:     hidden_block_count_z
      - .offset:         92
        .size:           2
        .value_kind:     hidden_group_size_x
      - .offset:         94
        .size:           2
        .value_kind:     hidden_group_size_y
      - .offset:         96
        .size:           2
        .value_kind:     hidden_group_size_z
      - .offset:         98
        .size:           2
        .value_kind:     hidden_remainder_x
      - .offset:         100
        .size:           2
        .value_kind:     hidden_remainder_y
      - .offset:         102
        .size:           2
        .value_kind:     hidden_remainder_z
      - .offset:         120
        .size:           8
        .value_kind:     hidden_global_offset_x
      - .offset:         128
        .size:           8
        .value_kind:     hidden_global_offset_y
      - .offset:         136
        .size:           8
        .value_kind:     hidden_global_offset_z
      - .offset:         144
        .size:           2
        .value_kind:     hidden_grid_dims
    .group_segment_fixed_size: 0
    .kernarg_segment_align: 8
    .kernarg_segment_size: 336
    .language:       OpenCL C
    .language_version:
      - 2
      - 0
    .max_flat_workgroup_size: 1024
    .name:           _ZN4vllm21deepseek_v4_fused_ops47fusedDeepseekV4QNormRopeKVRopeQuantInsertKernelIN3c104HalfELi16EEEvPKT_PS4_S6_PhPKlSA_PKffiiiii
    .private_segment_fixed_size: 0
    .sgpr_count:     24
    .sgpr_spill_count: 0
    .symbol:         _ZN4vllm21deepseek_v4_fused_ops47fusedDeepseekV4QNormRopeKVRopeQuantInsertKernelIN3c104HalfELi16EEEvPKT_PS4_S6_PhPKlSA_PKffiiiii.kd
    .uniform_work_group_size: 1
    .uses_dynamic_stack: false
    .vgpr_count:     49
    .vgpr_spill_count: 0
    .wavefront_size: 32
    .workgroup_processor_mode: 1
  - .args:
      - .actual_access:  read_only
        .address_space:  global
        .offset:         0
        .size:           8
        .value_kind:     global_buffer
      - .actual_access:  write_only
        .address_space:  global
        .offset:         8
        .size:           8
        .value_kind:     global_buffer
      - .actual_access:  read_only
        .address_space:  global
        .offset:         16
        .size:           8
        .value_kind:     global_buffer
      - .actual_access:  write_only
        .address_space:  global
        .offset:         24
        .size:           8
        .value_kind:     global_buffer
      - .actual_access:  read_only
        .address_space:  global
        .offset:         32
        .size:           8
        .value_kind:     global_buffer
      - .actual_access:  read_only
        .address_space:  global
        .offset:         40
        .size:           8
        .value_kind:     global_buffer
      - .actual_access:  read_only
        .address_space:  global
        .offset:         48
        .size:           8
        .value_kind:     global_buffer
      - .offset:         56
        .size:           4
        .value_kind:     by_value
      - .offset:         60
        .size:           4
        .value_kind:     by_value
      - .offset:         64
        .size:           4
        .value_kind:     by_value
      - .offset:         68
        .size:           4
        .value_kind:     by_value
      - .offset:         72
        .size:           4
        .value_kind:     by_value
      - .offset:         76
        .size:           4
        .value_kind:     by_value
      - .offset:         80
        .size:           4
        .value_kind:     hidden_block_count_x
      - .offset:         84
        .size:           4
        .value_kind:     hidden_block_count_y
      - .offset:         88
        .size:           4
        .value_kind:     hidden_block_count_z
      - .offset:         92
        .size:           2
        .value_kind:     hidden_group_size_x
      - .offset:         94
        .size:           2
        .value_kind:     hidden_group_size_y
      - .offset:         96
        .size:           2
        .value_kind:     hidden_group_size_z
      - .offset:         98
        .size:           2
        .value_kind:     hidden_remainder_x
      - .offset:         100
        .size:           2
        .value_kind:     hidden_remainder_y
      - .offset:         102
        .size:           2
        .value_kind:     hidden_remainder_z
      - .offset:         120
        .size:           8
        .value_kind:     hidden_global_offset_x
      - .offset:         128
        .size:           8
        .value_kind:     hidden_global_offset_y
      - .offset:         136
        .size:           8
        .value_kind:     hidden_global_offset_z
      - .offset:         144
        .size:           2
        .value_kind:     hidden_grid_dims
    .group_segment_fixed_size: 0
    .kernarg_segment_align: 8
    .kernarg_segment_size: 336
    .language:       OpenCL C
    .language_version:
      - 2
      - 0
    .max_flat_workgroup_size: 1024
    .name:           _ZN4vllm21deepseek_v4_fused_ops47fusedDeepseekV4QNormRopeKVRopeQuantInsertKernelIN3c104HalfELi32EEEvPKT_PS4_S6_PhPKlSA_PKffiiiii
    .private_segment_fixed_size: 0
    .sgpr_count:     24
    .sgpr_spill_count: 0
    .symbol:         _ZN4vllm21deepseek_v4_fused_ops47fusedDeepseekV4QNormRopeKVRopeQuantInsertKernelIN3c104HalfELi32EEEvPKT_PS4_S6_PhPKlSA_PKffiiiii.kd
    .uniform_work_group_size: 1
    .uses_dynamic_stack: false
    .vgpr_count:     49
    .vgpr_spill_count: 0
    .wavefront_size: 32
    .workgroup_processor_mode: 1
  - .args:
      - .actual_access:  read_only
        .address_space:  global
        .offset:         0
        .size:           8
        .value_kind:     global_buffer
      - .actual_access:  write_only
        .address_space:  global
        .offset:         8
        .size:           8
        .value_kind:     global_buffer
      - .actual_access:  read_only
        .address_space:  global
        .offset:         16
        .size:           8
        .value_kind:     global_buffer
      - .actual_access:  write_only
        .address_space:  global
        .offset:         24
        .size:           8
        .value_kind:     global_buffer
      - .actual_access:  read_only
        .address_space:  global
        .offset:         32
        .size:           8
        .value_kind:     global_buffer
      - .actual_access:  read_only
        .address_space:  global
        .offset:         40
        .size:           8
        .value_kind:     global_buffer
      - .actual_access:  read_only
        .address_space:  global
        .offset:         48
        .size:           8
        .value_kind:     global_buffer
      - .offset:         56
        .size:           4
        .value_kind:     by_value
      - .offset:         60
        .size:           4
        .value_kind:     by_value
      - .offset:         64
        .size:           4
        .value_kind:     by_value
      - .offset:         68
        .size:           4
        .value_kind:     by_value
      - .offset:         72
        .size:           4
        .value_kind:     by_value
      - .offset:         76
        .size:           4
        .value_kind:     by_value
      - .offset:         80
        .size:           4
        .value_kind:     hidden_block_count_x
      - .offset:         84
        .size:           4
        .value_kind:     hidden_block_count_y
      - .offset:         88
        .size:           4
        .value_kind:     hidden_block_count_z
      - .offset:         92
        .size:           2
        .value_kind:     hidden_group_size_x
      - .offset:         94
        .size:           2
        .value_kind:     hidden_group_size_y
      - .offset:         96
        .size:           2
        .value_kind:     hidden_group_size_z
      - .offset:         98
        .size:           2
        .value_kind:     hidden_remainder_x
      - .offset:         100
        .size:           2
        .value_kind:     hidden_remainder_y
      - .offset:         102
        .size:           2
        .value_kind:     hidden_remainder_z
      - .offset:         120
        .size:           8
        .value_kind:     hidden_global_offset_x
      - .offset:         128
        .size:           8
        .value_kind:     hidden_global_offset_y
      - .offset:         136
        .size:           8
        .value_kind:     hidden_global_offset_z
      - .offset:         144
        .size:           2
        .value_kind:     hidden_grid_dims
    .group_segment_fixed_size: 0
    .kernarg_segment_align: 8
    .kernarg_segment_size: 336
    .language:       OpenCL C
    .language_version:
      - 2
      - 0
    .max_flat_workgroup_size: 1024
    .name:           _ZN4vllm21deepseek_v4_fused_ops47fusedDeepseekV4QNormRopeKVRopeQuantInsertKernelIN3c104HalfELi64EEEvPKT_PS4_S6_PhPKlSA_PKffiiiii
    .private_segment_fixed_size: 0
    .sgpr_count:     24
    .sgpr_spill_count: 0
    .symbol:         _ZN4vllm21deepseek_v4_fused_ops47fusedDeepseekV4QNormRopeKVRopeQuantInsertKernelIN3c104HalfELi64EEEvPKT_PS4_S6_PhPKlSA_PKffiiiii.kd
    .uniform_work_group_size: 1
    .uses_dynamic_stack: false
    .vgpr_count:     49
    .vgpr_spill_count: 0
    .wavefront_size: 32
    .workgroup_processor_mode: 1
  - .args:
      - .actual_access:  read_only
        .address_space:  global
        .offset:         0
        .size:           8
        .value_kind:     global_buffer
      - .actual_access:  write_only
        .address_space:  global
        .offset:         8
        .size:           8
        .value_kind:     global_buffer
      - .actual_access:  read_only
        .address_space:  global
        .offset:         16
        .size:           8
        .value_kind:     global_buffer
      - .actual_access:  write_only
        .address_space:  global
        .offset:         24
        .size:           8
        .value_kind:     global_buffer
      - .actual_access:  read_only
        .address_space:  global
        .offset:         32
        .size:           8
        .value_kind:     global_buffer
      - .actual_access:  read_only
        .address_space:  global
        .offset:         40
        .size:           8
        .value_kind:     global_buffer
      - .actual_access:  read_only
        .address_space:  global
        .offset:         48
        .size:           8
        .value_kind:     global_buffer
      - .offset:         56
        .size:           4
        .value_kind:     by_value
      - .offset:         60
        .size:           4
        .value_kind:     by_value
      - .offset:         64
        .size:           4
        .value_kind:     by_value
      - .offset:         68
        .size:           4
        .value_kind:     by_value
      - .offset:         72
        .size:           4
        .value_kind:     by_value
      - .offset:         76
        .size:           4
        .value_kind:     by_value
      - .offset:         80
        .size:           4
        .value_kind:     hidden_block_count_x
      - .offset:         84
        .size:           4
        .value_kind:     hidden_block_count_y
      - .offset:         88
        .size:           4
        .value_kind:     hidden_block_count_z
      - .offset:         92
        .size:           2
        .value_kind:     hidden_group_size_x
      - .offset:         94
        .size:           2
        .value_kind:     hidden_group_size_y
      - .offset:         96
        .size:           2
        .value_kind:     hidden_group_size_z
      - .offset:         98
        .size:           2
        .value_kind:     hidden_remainder_x
      - .offset:         100
        .size:           2
        .value_kind:     hidden_remainder_y
      - .offset:         102
        .size:           2
        .value_kind:     hidden_remainder_z
      - .offset:         120
        .size:           8
        .value_kind:     hidden_global_offset_x
      - .offset:         128
        .size:           8
        .value_kind:     hidden_global_offset_y
      - .offset:         136
        .size:           8
        .value_kind:     hidden_global_offset_z
      - .offset:         144
        .size:           2
        .value_kind:     hidden_grid_dims
    .group_segment_fixed_size: 0
    .kernarg_segment_align: 8
    .kernarg_segment_size: 336
    .language:       OpenCL C
    .language_version:
      - 2
      - 0
    .max_flat_workgroup_size: 1024
    .name:           _ZN4vllm21deepseek_v4_fused_ops47fusedDeepseekV4QNormRopeKVRopeQuantInsertKernelIN3c104HalfELi128EEEvPKT_PS4_S6_PhPKlSA_PKffiiiii
    .private_segment_fixed_size: 0
    .sgpr_count:     24
    .sgpr_spill_count: 0
    .symbol:         _ZN4vllm21deepseek_v4_fused_ops47fusedDeepseekV4QNormRopeKVRopeQuantInsertKernelIN3c104HalfELi128EEEvPKT_PS4_S6_PhPKlSA_PKffiiiii.kd
    .uniform_work_group_size: 1
    .uses_dynamic_stack: false
    .vgpr_count:     49
    .vgpr_spill_count: 0
    .wavefront_size: 32
    .workgroup_processor_mode: 1
  - .args:
      - .actual_access:  read_only
        .address_space:  global
        .offset:         0
        .size:           8
        .value_kind:     global_buffer
      - .actual_access:  write_only
        .address_space:  global
        .offset:         8
        .size:           8
        .value_kind:     global_buffer
      - .actual_access:  read_only
        .address_space:  global
        .offset:         16
        .size:           8
        .value_kind:     global_buffer
      - .actual_access:  write_only
        .address_space:  global
        .offset:         24
        .size:           8
        .value_kind:     global_buffer
      - .actual_access:  read_only
        .address_space:  global
        .offset:         32
        .size:           8
        .value_kind:     global_buffer
      - .actual_access:  read_only
        .address_space:  global
        .offset:         40
        .size:           8
        .value_kind:     global_buffer
      - .actual_access:  read_only
        .address_space:  global
        .offset:         48
        .size:           8
        .value_kind:     global_buffer
      - .offset:         56
        .size:           4
        .value_kind:     by_value
      - .offset:         60
        .size:           4
        .value_kind:     by_value
      - .offset:         64
        .size:           4
        .value_kind:     by_value
      - .offset:         68
        .size:           4
        .value_kind:     by_value
      - .offset:         72
        .size:           4
        .value_kind:     by_value
      - .offset:         76
        .size:           4
        .value_kind:     by_value
      - .offset:         80
        .size:           4
        .value_kind:     hidden_block_count_x
      - .offset:         84
        .size:           4
        .value_kind:     hidden_block_count_y
      - .offset:         88
        .size:           4
        .value_kind:     hidden_block_count_z
      - .offset:         92
        .size:           2
        .value_kind:     hidden_group_size_x
      - .offset:         94
        .size:           2
        .value_kind:     hidden_group_size_y
      - .offset:         96
        .size:           2
        .value_kind:     hidden_group_size_z
      - .offset:         98
        .size:           2
        .value_kind:     hidden_remainder_x
      - .offset:         100
        .size:           2
        .value_kind:     hidden_remainder_y
      - .offset:         102
        .size:           2
        .value_kind:     hidden_remainder_z
      - .offset:         120
        .size:           8
        .value_kind:     hidden_global_offset_x
      - .offset:         128
        .size:           8
        .value_kind:     hidden_global_offset_y
      - .offset:         136
        .size:           8
        .value_kind:     hidden_global_offset_z
      - .offset:         144
        .size:           2
        .value_kind:     hidden_grid_dims
    .group_segment_fixed_size: 0
    .kernarg_segment_align: 8
    .kernarg_segment_size: 336
    .language:       OpenCL C
    .language_version:
      - 2
      - 0
    .max_flat_workgroup_size: 1024
    .name:           _ZN4vllm21deepseek_v4_fused_ops47fusedDeepseekV4QNormRopeKVRopeQuantInsertKernelIN3c108BFloat16ELi8EEEvPKT_PS4_S6_PhPKlSA_PKffiiiii
    .private_segment_fixed_size: 0
    .sgpr_count:     24
    .sgpr_spill_count: 0
    .symbol:         _ZN4vllm21deepseek_v4_fused_ops47fusedDeepseekV4QNormRopeKVRopeQuantInsertKernelIN3c108BFloat16ELi8EEEvPKT_PS4_S6_PhPKlSA_PKffiiiii.kd
    .uniform_work_group_size: 1
    .uses_dynamic_stack: false
    .vgpr_count:     53
    .vgpr_spill_count: 0
    .wavefront_size: 32
    .workgroup_processor_mode: 1
  - .args:
      - .actual_access:  read_only
        .address_space:  global
        .offset:         0
        .size:           8
        .value_kind:     global_buffer
      - .actual_access:  write_only
        .address_space:  global
        .offset:         8
        .size:           8
        .value_kind:     global_buffer
      - .actual_access:  read_only
        .address_space:  global
        .offset:         16
        .size:           8
        .value_kind:     global_buffer
      - .actual_access:  write_only
        .address_space:  global
        .offset:         24
        .size:           8
        .value_kind:     global_buffer
      - .actual_access:  read_only
        .address_space:  global
        .offset:         32
        .size:           8
        .value_kind:     global_buffer
      - .actual_access:  read_only
        .address_space:  global
        .offset:         40
        .size:           8
        .value_kind:     global_buffer
      - .actual_access:  read_only
        .address_space:  global
        .offset:         48
        .size:           8
        .value_kind:     global_buffer
      - .offset:         56
        .size:           4
        .value_kind:     by_value
      - .offset:         60
        .size:           4
        .value_kind:     by_value
      - .offset:         64
        .size:           4
        .value_kind:     by_value
      - .offset:         68
        .size:           4
        .value_kind:     by_value
      - .offset:         72
        .size:           4
        .value_kind:     by_value
      - .offset:         76
        .size:           4
        .value_kind:     by_value
      - .offset:         80
        .size:           4
        .value_kind:     hidden_block_count_x
      - .offset:         84
        .size:           4
        .value_kind:     hidden_block_count_y
      - .offset:         88
        .size:           4
        .value_kind:     hidden_block_count_z
      - .offset:         92
        .size:           2
        .value_kind:     hidden_group_size_x
      - .offset:         94
        .size:           2
        .value_kind:     hidden_group_size_y
      - .offset:         96
        .size:           2
        .value_kind:     hidden_group_size_z
      - .offset:         98
        .size:           2
        .value_kind:     hidden_remainder_x
      - .offset:         100
        .size:           2
        .value_kind:     hidden_remainder_y
      - .offset:         102
        .size:           2
        .value_kind:     hidden_remainder_z
      - .offset:         120
        .size:           8
        .value_kind:     hidden_global_offset_x
      - .offset:         128
        .size:           8
        .value_kind:     hidden_global_offset_y
      - .offset:         136
        .size:           8
        .value_kind:     hidden_global_offset_z
      - .offset:         144
        .size:           2
        .value_kind:     hidden_grid_dims
    .group_segment_fixed_size: 0
    .kernarg_segment_align: 8
    .kernarg_segment_size: 336
    .language:       OpenCL C
    .language_version:
      - 2
      - 0
    .max_flat_workgroup_size: 1024
    .name:           _ZN4vllm21deepseek_v4_fused_ops47fusedDeepseekV4QNormRopeKVRopeQuantInsertKernelIN3c108BFloat16ELi16EEEvPKT_PS4_S6_PhPKlSA_PKffiiiii
    .private_segment_fixed_size: 0
    .sgpr_count:     24
    .sgpr_spill_count: 0
    .symbol:         _ZN4vllm21deepseek_v4_fused_ops47fusedDeepseekV4QNormRopeKVRopeQuantInsertKernelIN3c108BFloat16ELi16EEEvPKT_PS4_S6_PhPKlSA_PKffiiiii.kd
    .uniform_work_group_size: 1
    .uses_dynamic_stack: false
    .vgpr_count:     53
    .vgpr_spill_count: 0
    .wavefront_size: 32
    .workgroup_processor_mode: 1
  - .args:
      - .actual_access:  read_only
        .address_space:  global
        .offset:         0
        .size:           8
        .value_kind:     global_buffer
      - .actual_access:  write_only
        .address_space:  global
        .offset:         8
        .size:           8
        .value_kind:     global_buffer
      - .actual_access:  read_only
        .address_space:  global
        .offset:         16
        .size:           8
        .value_kind:     global_buffer
      - .actual_access:  write_only
        .address_space:  global
        .offset:         24
        .size:           8
        .value_kind:     global_buffer
      - .actual_access:  read_only
        .address_space:  global
        .offset:         32
        .size:           8
        .value_kind:     global_buffer
      - .actual_access:  read_only
        .address_space:  global
        .offset:         40
        .size:           8
        .value_kind:     global_buffer
      - .actual_access:  read_only
        .address_space:  global
        .offset:         48
        .size:           8
        .value_kind:     global_buffer
      - .offset:         56
        .size:           4
        .value_kind:     by_value
      - .offset:         60
        .size:           4
        .value_kind:     by_value
      - .offset:         64
        .size:           4
        .value_kind:     by_value
      - .offset:         68
        .size:           4
        .value_kind:     by_value
      - .offset:         72
        .size:           4
        .value_kind:     by_value
      - .offset:         76
        .size:           4
        .value_kind:     by_value
      - .offset:         80
        .size:           4
        .value_kind:     hidden_block_count_x
      - .offset:         84
        .size:           4
        .value_kind:     hidden_block_count_y
      - .offset:         88
        .size:           4
        .value_kind:     hidden_block_count_z
      - .offset:         92
        .size:           2
        .value_kind:     hidden_group_size_x
      - .offset:         94
        .size:           2
        .value_kind:     hidden_group_size_y
      - .offset:         96
        .size:           2
        .value_kind:     hidden_group_size_z
      - .offset:         98
        .size:           2
        .value_kind:     hidden_remainder_x
      - .offset:         100
        .size:           2
        .value_kind:     hidden_remainder_y
      - .offset:         102
        .size:           2
        .value_kind:     hidden_remainder_z
      - .offset:         120
        .size:           8
        .value_kind:     hidden_global_offset_x
      - .offset:         128
        .size:           8
        .value_kind:     hidden_global_offset_y
      - .offset:         136
        .size:           8
        .value_kind:     hidden_global_offset_z
      - .offset:         144
        .size:           2
        .value_kind:     hidden_grid_dims
    .group_segment_fixed_size: 0
    .kernarg_segment_align: 8
    .kernarg_segment_size: 336
    .language:       OpenCL C
    .language_version:
      - 2
      - 0
    .max_flat_workgroup_size: 1024
    .name:           _ZN4vllm21deepseek_v4_fused_ops47fusedDeepseekV4QNormRopeKVRopeQuantInsertKernelIN3c108BFloat16ELi32EEEvPKT_PS4_S6_PhPKlSA_PKffiiiii
    .private_segment_fixed_size: 0
    .sgpr_count:     24
    .sgpr_spill_count: 0
    .symbol:         _ZN4vllm21deepseek_v4_fused_ops47fusedDeepseekV4QNormRopeKVRopeQuantInsertKernelIN3c108BFloat16ELi32EEEvPKT_PS4_S6_PhPKlSA_PKffiiiii.kd
    .uniform_work_group_size: 1
    .uses_dynamic_stack: false
    .vgpr_count:     53
    .vgpr_spill_count: 0
    .wavefront_size: 32
    .workgroup_processor_mode: 1
  - .args:
      - .actual_access:  read_only
        .address_space:  global
        .offset:         0
        .size:           8
        .value_kind:     global_buffer
      - .actual_access:  write_only
        .address_space:  global
        .offset:         8
        .size:           8
        .value_kind:     global_buffer
      - .actual_access:  read_only
        .address_space:  global
        .offset:         16
        .size:           8
        .value_kind:     global_buffer
      - .actual_access:  write_only
        .address_space:  global
        .offset:         24
        .size:           8
        .value_kind:     global_buffer
      - .actual_access:  read_only
        .address_space:  global
        .offset:         32
        .size:           8
        .value_kind:     global_buffer
      - .actual_access:  read_only
        .address_space:  global
        .offset:         40
        .size:           8
        .value_kind:     global_buffer
      - .actual_access:  read_only
        .address_space:  global
        .offset:         48
        .size:           8
        .value_kind:     global_buffer
      - .offset:         56
        .size:           4
        .value_kind:     by_value
      - .offset:         60
        .size:           4
        .value_kind:     by_value
      - .offset:         64
        .size:           4
        .value_kind:     by_value
      - .offset:         68
        .size:           4
        .value_kind:     by_value
      - .offset:         72
        .size:           4
        .value_kind:     by_value
      - .offset:         76
        .size:           4
        .value_kind:     by_value
      - .offset:         80
        .size:           4
        .value_kind:     hidden_block_count_x
      - .offset:         84
        .size:           4
        .value_kind:     hidden_block_count_y
      - .offset:         88
        .size:           4
        .value_kind:     hidden_block_count_z
      - .offset:         92
        .size:           2
        .value_kind:     hidden_group_size_x
      - .offset:         94
        .size:           2
        .value_kind:     hidden_group_size_y
      - .offset:         96
        .size:           2
        .value_kind:     hidden_group_size_z
      - .offset:         98
        .size:           2
        .value_kind:     hidden_remainder_x
      - .offset:         100
        .size:           2
        .value_kind:     hidden_remainder_y
      - .offset:         102
        .size:           2
        .value_kind:     hidden_remainder_z
      - .offset:         120
        .size:           8
        .value_kind:     hidden_global_offset_x
      - .offset:         128
        .size:           8
        .value_kind:     hidden_global_offset_y
      - .offset:         136
        .size:           8
        .value_kind:     hidden_global_offset_z
      - .offset:         144
        .size:           2
        .value_kind:     hidden_grid_dims
    .group_segment_fixed_size: 0
    .kernarg_segment_align: 8
    .kernarg_segment_size: 336
    .language:       OpenCL C
    .language_version:
      - 2
      - 0
    .max_flat_workgroup_size: 1024
    .name:           _ZN4vllm21deepseek_v4_fused_ops47fusedDeepseekV4QNormRopeKVRopeQuantInsertKernelIN3c108BFloat16ELi64EEEvPKT_PS4_S6_PhPKlSA_PKffiiiii
    .private_segment_fixed_size: 0
    .sgpr_count:     24
    .sgpr_spill_count: 0
    .symbol:         _ZN4vllm21deepseek_v4_fused_ops47fusedDeepseekV4QNormRopeKVRopeQuantInsertKernelIN3c108BFloat16ELi64EEEvPKT_PS4_S6_PhPKlSA_PKffiiiii.kd
    .uniform_work_group_size: 1
    .uses_dynamic_stack: false
    .vgpr_count:     53
    .vgpr_spill_count: 0
    .wavefront_size: 32
    .workgroup_processor_mode: 1
  - .args:
      - .actual_access:  read_only
        .address_space:  global
        .offset:         0
        .size:           8
        .value_kind:     global_buffer
      - .actual_access:  write_only
        .address_space:  global
        .offset:         8
        .size:           8
        .value_kind:     global_buffer
      - .actual_access:  read_only
        .address_space:  global
        .offset:         16
        .size:           8
        .value_kind:     global_buffer
      - .actual_access:  write_only
        .address_space:  global
        .offset:         24
        .size:           8
        .value_kind:     global_buffer
      - .actual_access:  read_only
        .address_space:  global
        .offset:         32
        .size:           8
        .value_kind:     global_buffer
      - .actual_access:  read_only
        .address_space:  global
        .offset:         40
        .size:           8
        .value_kind:     global_buffer
      - .actual_access:  read_only
        .address_space:  global
        .offset:         48
        .size:           8
        .value_kind:     global_buffer
      - .offset:         56
        .size:           4
        .value_kind:     by_value
      - .offset:         60
        .size:           4
        .value_kind:     by_value
      - .offset:         64
        .size:           4
        .value_kind:     by_value
      - .offset:         68
        .size:           4
        .value_kind:     by_value
      - .offset:         72
        .size:           4
        .value_kind:     by_value
      - .offset:         76
        .size:           4
        .value_kind:     by_value
      - .offset:         80
        .size:           4
        .value_kind:     hidden_block_count_x
      - .offset:         84
        .size:           4
        .value_kind:     hidden_block_count_y
      - .offset:         88
        .size:           4
        .value_kind:     hidden_block_count_z
      - .offset:         92
        .size:           2
        .value_kind:     hidden_group_size_x
      - .offset:         94
        .size:           2
        .value_kind:     hidden_group_size_y
      - .offset:         96
        .size:           2
        .value_kind:     hidden_group_size_z
      - .offset:         98
        .size:           2
        .value_kind:     hidden_remainder_x
      - .offset:         100
        .size:           2
        .value_kind:     hidden_remainder_y
      - .offset:         102
        .size:           2
        .value_kind:     hidden_remainder_z
      - .offset:         120
        .size:           8
        .value_kind:     hidden_global_offset_x
      - .offset:         128
        .size:           8
        .value_kind:     hidden_global_offset_y
      - .offset:         136
        .size:           8
        .value_kind:     hidden_global_offset_z
      - .offset:         144
        .size:           2
        .value_kind:     hidden_grid_dims
    .group_segment_fixed_size: 0
    .kernarg_segment_align: 8
    .kernarg_segment_size: 336
    .language:       OpenCL C
    .language_version:
      - 2
      - 0
    .max_flat_workgroup_size: 1024
    .name:           _ZN4vllm21deepseek_v4_fused_ops47fusedDeepseekV4QNormRopeKVRopeQuantInsertKernelIN3c108BFloat16ELi128EEEvPKT_PS4_S6_PhPKlSA_PKffiiiii
    .private_segment_fixed_size: 0
    .sgpr_count:     24
    .sgpr_spill_count: 0
    .symbol:         _ZN4vllm21deepseek_v4_fused_ops47fusedDeepseekV4QNormRopeKVRopeQuantInsertKernelIN3c108BFloat16ELi128EEEvPKT_PS4_S6_PhPKlSA_PKffiiiii.kd
    .uniform_work_group_size: 1
    .uses_dynamic_stack: false
    .vgpr_count:     53
    .vgpr_spill_count: 0
    .wavefront_size: 32
    .workgroup_processor_mode: 1
  - .args:
      - .address_space:  global
        .offset:         0
        .size:           8
        .value_kind:     global_buffer
      - .actual_access:  read_only
        .address_space:  global
        .offset:         8
        .size:           8
        .value_kind:     global_buffer
      - .offset:         16
        .size:           8
        .value_kind:     by_value
      - .offset:         24
        .size:           8
        .value_kind:     by_value
      - .actual_access:  read_only
        .address_space:  global
        .offset:         32
        .size:           8
        .value_kind:     global_buffer
      - .actual_access:  write_only
        .address_space:  global
        .offset:         40
        .size:           8
        .value_kind:     global_buffer
      - .actual_access:  read_only
        .address_space:  global
        .offset:         48
        .size:           8
        .value_kind:     global_buffer
      - .actual_access:  read_only
        .address_space:  global
        .offset:         56
        .size:           8
        .value_kind:     global_buffer
      - .actual_access:  read_only
        .address_space:  global
        .offset:         64
        .size:           8
        .value_kind:     global_buffer
      - .actual_access:  read_only
        .address_space:  global
        .offset:         72
        .size:           8
        .value_kind:     global_buffer
      - .actual_access:  read_only
        .address_space:  global
        .offset:         80
        .size:           8
        .value_kind:     global_buffer
      - .offset:         88
        .size:           4
        .value_kind:     by_value
      - .offset:         92
        .size:           4
        .value_kind:     by_value
      - .offset:         96
        .size:           4
        .value_kind:     by_value
      - .offset:         100
        .size:           4
        .value_kind:     by_value
      - .offset:         104
        .size:           4
        .value_kind:     by_value
      - .offset:         112
        .size:           8
        .value_kind:     by_value
      - .offset:         120
        .size:           8
        .value_kind:     by_value
      - .offset:         128
        .size:           4
        .value_kind:     hidden_block_count_x
      - .offset:         132
        .size:           4
        .value_kind:     hidden_block_count_y
      - .offset:         136
        .size:           4
        .value_kind:     hidden_block_count_z
      - .offset:         140
        .size:           2
        .value_kind:     hidden_group_size_x
      - .offset:         142
        .size:           2
        .value_kind:     hidden_group_size_y
      - .offset:         144
        .size:           2
        .value_kind:     hidden_group_size_z
      - .offset:         146
        .size:           2
        .value_kind:     hidden_remainder_x
      - .offset:         148
        .size:           2
        .value_kind:     hidden_remainder_y
      - .offset:         150
        .size:           2
        .value_kind:     hidden_remainder_z
      - .offset:         168
        .size:           8
        .value_kind:     hidden_global_offset_x
      - .offset:         176
        .size:           8
        .value_kind:     hidden_global_offset_y
      - .offset:         184
        .size:           8
        .value_kind:     hidden_global_offset_z
      - .offset:         192
        .size:           2
        .value_kind:     hidden_grid_dims
    .group_segment_fixed_size: 0
    .kernarg_segment_align: 8
    .kernarg_segment_size: 384
    .language:       OpenCL C
    .language_version:
      - 2
      - 0
    .max_flat_workgroup_size: 1024
    .name:           _ZN4vllm21deepseek_v4_fused_ops30fusedDeepseekV4FullCacheKernelIN3c104HalfELb0ELb0EEEvPT_PhllPKS4_S6_PKlSA_PKfSC_SC_fiiiill
    .private_segment_fixed_size: 0
    .sgpr_count:     22
    .sgpr_spill_count: 0
    .symbol:         _ZN4vllm21deepseek_v4_fused_ops30fusedDeepseekV4FullCacheKernelIN3c104HalfELb0ELb0EEEvPT_PhllPKS4_S6_PKlSA_PKfSC_SC_fiiiill.kd
    .uniform_work_group_size: 1
    .uses_dynamic_stack: false
    .vgpr_count:     54
    .vgpr_spill_count: 0
    .wavefront_size: 32
    .workgroup_processor_mode: 1
  - .args:
      - .address_space:  global
        .offset:         0
        .size:           8
        .value_kind:     global_buffer
      - .actual_access:  read_only
        .address_space:  global
        .offset:         8
        .size:           8
        .value_kind:     global_buffer
      - .offset:         16
        .size:           8
        .value_kind:     by_value
      - .offset:         24
        .size:           8
        .value_kind:     by_value
      - .actual_access:  read_only
        .address_space:  global
        .offset:         32
        .size:           8
        .value_kind:     global_buffer
      - .actual_access:  write_only
        .address_space:  global
        .offset:         40
        .size:           8
        .value_kind:     global_buffer
      - .actual_access:  read_only
        .address_space:  global
        .offset:         48
        .size:           8
        .value_kind:     global_buffer
      - .actual_access:  read_only
        .address_space:  global
        .offset:         56
        .size:           8
        .value_kind:     global_buffer
      - .actual_access:  read_only
        .address_space:  global
        .offset:         64
        .size:           8
        .value_kind:     global_buffer
      - .actual_access:  read_only
        .address_space:  global
        .offset:         72
        .size:           8
        .value_kind:     global_buffer
      - .actual_access:  read_only
        .address_space:  global
        .offset:         80
        .size:           8
        .value_kind:     global_buffer
      - .offset:         88
        .size:           4
        .value_kind:     by_value
      - .offset:         92
        .size:           4
        .value_kind:     by_value
      - .offset:         96
        .size:           4
        .value_kind:     by_value
      - .offset:         100
        .size:           4
        .value_kind:     by_value
      - .offset:         104
        .size:           4
        .value_kind:     by_value
      - .offset:         112
        .size:           8
        .value_kind:     by_value
      - .offset:         120
        .size:           8
        .value_kind:     by_value
      - .offset:         128
        .size:           4
        .value_kind:     hidden_block_count_x
      - .offset:         132
        .size:           4
        .value_kind:     hidden_block_count_y
      - .offset:         136
        .size:           4
        .value_kind:     hidden_block_count_z
      - .offset:         140
        .size:           2
        .value_kind:     hidden_group_size_x
      - .offset:         142
        .size:           2
        .value_kind:     hidden_group_size_y
      - .offset:         144
        .size:           2
        .value_kind:     hidden_group_size_z
      - .offset:         146
        .size:           2
        .value_kind:     hidden_remainder_x
      - .offset:         148
        .size:           2
        .value_kind:     hidden_remainder_y
      - .offset:         150
        .size:           2
        .value_kind:     hidden_remainder_z
      - .offset:         168
        .size:           8
        .value_kind:     hidden_global_offset_x
      - .offset:         176
        .size:           8
        .value_kind:     hidden_global_offset_y
      - .offset:         184
        .size:           8
        .value_kind:     hidden_global_offset_z
      - .offset:         192
        .size:           2
        .value_kind:     hidden_grid_dims
    .group_segment_fixed_size: 0
    .kernarg_segment_align: 8
    .kernarg_segment_size: 384
    .language:       OpenCL C
    .language_version:
      - 2
      - 0
    .max_flat_workgroup_size: 1024
    .name:           _ZN4vllm21deepseek_v4_fused_ops30fusedDeepseekV4FullCacheKernelIN3c108BFloat16ELb0ELb0EEEvPT_PhllPKS4_S6_PKlSA_PKfSC_SC_fiiiill
    .private_segment_fixed_size: 0
    .sgpr_count:     22
    .sgpr_spill_count: 0
    .symbol:         _ZN4vllm21deepseek_v4_fused_ops30fusedDeepseekV4FullCacheKernelIN3c108BFloat16ELb0ELb0EEEvPT_PhllPKS4_S6_PKlSA_PKfSC_SC_fiiiill.kd
    .uniform_work_group_size: 1
    .uses_dynamic_stack: false
    .vgpr_count:     56
    .vgpr_spill_count: 0
    .wavefront_size: 32
    .workgroup_processor_mode: 1
  - .args:
      - .actual_access:  read_only
        .address_space:  global
        .offset:         0
        .size:           8
        .value_kind:     global_buffer
      - .actual_access:  write_only
        .address_space:  global
        .offset:         8
        .size:           8
        .value_kind:     global_buffer
      - .offset:         16
        .size:           8
        .value_kind:     by_value
      - .offset:         24
        .size:           8
        .value_kind:     by_value
      - .actual_access:  read_only
        .address_space:  global
        .offset:         32
        .size:           8
        .value_kind:     global_buffer
      - .actual_access:  write_only
        .address_space:  global
        .offset:         40
        .size:           8
        .value_kind:     global_buffer
      - .actual_access:  read_only
        .address_space:  global
        .offset:         48
        .size:           8
        .value_kind:     global_buffer
      - .actual_access:  read_only
        .address_space:  global
        .offset:         56
        .size:           8
        .value_kind:     global_buffer
      - .actual_access:  read_only
        .address_space:  global
        .offset:         64
        .size:           8
        .value_kind:     global_buffer
      - .actual_access:  read_only
        .address_space:  global
        .offset:         72
        .size:           8
        .value_kind:     global_buffer
      - .actual_access:  read_only
        .address_space:  global
        .offset:         80
        .size:           8
        .value_kind:     global_buffer
      - .offset:         88
        .size:           4
        .value_kind:     by_value
      - .offset:         92
        .size:           4
        .value_kind:     by_value
      - .offset:         96
        .size:           4
        .value_kind:     by_value
      - .offset:         100
        .size:           4
        .value_kind:     by_value
      - .offset:         104
        .size:           4
        .value_kind:     by_value
      - .offset:         112
        .size:           8
        .value_kind:     by_value
      - .offset:         120
        .size:           8
        .value_kind:     by_value
      - .offset:         128
        .size:           4
        .value_kind:     hidden_block_count_x
      - .offset:         132
        .size:           4
        .value_kind:     hidden_block_count_y
      - .offset:         136
        .size:           4
        .value_kind:     hidden_block_count_z
      - .offset:         140
        .size:           2
        .value_kind:     hidden_group_size_x
      - .offset:         142
        .size:           2
        .value_kind:     hidden_group_size_y
      - .offset:         144
        .size:           2
        .value_kind:     hidden_group_size_z
      - .offset:         146
        .size:           2
        .value_kind:     hidden_remainder_x
      - .offset:         148
        .size:           2
        .value_kind:     hidden_remainder_y
      - .offset:         150
        .size:           2
        .value_kind:     hidden_remainder_z
      - .offset:         168
        .size:           8
        .value_kind:     hidden_global_offset_x
      - .offset:         176
        .size:           8
        .value_kind:     hidden_global_offset_y
      - .offset:         184
        .size:           8
        .value_kind:     hidden_global_offset_z
      - .offset:         192
        .size:           2
        .value_kind:     hidden_grid_dims
    .group_segment_fixed_size: 0
    .kernarg_segment_align: 8
    .kernarg_segment_size: 384
    .language:       OpenCL C
    .language_version:
      - 2
      - 0
    .max_flat_workgroup_size: 1024
    .name:           _ZN4vllm21deepseek_v4_fused_ops30fusedDeepseekV4FullCacheKernelIN3c104HalfELb1ELb1EEEvPT_PhllPKS4_S6_PKlSA_PKfSC_SC_fiiiill
    .private_segment_fixed_size: 0
    .sgpr_count:     18
    .sgpr_spill_count: 0
    .symbol:         _ZN4vllm21deepseek_v4_fused_ops30fusedDeepseekV4FullCacheKernelIN3c104HalfELb1ELb1EEEvPT_PhllPKS4_S6_PKlSA_PKfSC_SC_fiiiill.kd
    .uniform_work_group_size: 1
    .uses_dynamic_stack: false
    .vgpr_count:     54
    .vgpr_spill_count: 0
    .wavefront_size: 32
    .workgroup_processor_mode: 1
  - .args:
      - .actual_access:  read_only
        .address_space:  global
        .offset:         0
        .size:           8
        .value_kind:     global_buffer
      - .actual_access:  write_only
        .address_space:  global
        .offset:         8
        .size:           8
        .value_kind:     global_buffer
      - .offset:         16
        .size:           8
        .value_kind:     by_value
      - .offset:         24
        .size:           8
        .value_kind:     by_value
      - .actual_access:  read_only
        .address_space:  global
        .offset:         32
        .size:           8
        .value_kind:     global_buffer
      - .actual_access:  write_only
        .address_space:  global
        .offset:         40
        .size:           8
        .value_kind:     global_buffer
      - .actual_access:  read_only
        .address_space:  global
        .offset:         48
        .size:           8
        .value_kind:     global_buffer
      - .actual_access:  read_only
        .address_space:  global
        .offset:         56
        .size:           8
        .value_kind:     global_buffer
      - .actual_access:  read_only
        .address_space:  global
        .offset:         64
        .size:           8
        .value_kind:     global_buffer
      - .actual_access:  read_only
        .address_space:  global
        .offset:         72
        .size:           8
        .value_kind:     global_buffer
      - .actual_access:  read_only
        .address_space:  global
        .offset:         80
        .size:           8
        .value_kind:     global_buffer
      - .offset:         88
        .size:           4
        .value_kind:     by_value
      - .offset:         92
        .size:           4
        .value_kind:     by_value
      - .offset:         96
        .size:           4
        .value_kind:     by_value
      - .offset:         100
        .size:           4
        .value_kind:     by_value
      - .offset:         104
        .size:           4
        .value_kind:     by_value
      - .offset:         112
        .size:           8
        .value_kind:     by_value
      - .offset:         120
        .size:           8
        .value_kind:     by_value
      - .offset:         128
        .size:           4
        .value_kind:     hidden_block_count_x
      - .offset:         132
        .size:           4
        .value_kind:     hidden_block_count_y
      - .offset:         136
        .size:           4
        .value_kind:     hidden_block_count_z
      - .offset:         140
        .size:           2
        .value_kind:     hidden_group_size_x
      - .offset:         142
        .size:           2
        .value_kind:     hidden_group_size_y
      - .offset:         144
        .size:           2
        .value_kind:     hidden_group_size_z
      - .offset:         146
        .size:           2
        .value_kind:     hidden_remainder_x
      - .offset:         148
        .size:           2
        .value_kind:     hidden_remainder_y
      - .offset:         150
        .size:           2
        .value_kind:     hidden_remainder_z
      - .offset:         168
        .size:           8
        .value_kind:     hidden_global_offset_x
      - .offset:         176
        .size:           8
        .value_kind:     hidden_global_offset_y
      - .offset:         184
        .size:           8
        .value_kind:     hidden_global_offset_z
      - .offset:         192
        .size:           2
        .value_kind:     hidden_grid_dims
    .group_segment_fixed_size: 0
    .kernarg_segment_align: 8
    .kernarg_segment_size: 384
    .language:       OpenCL C
    .language_version:
      - 2
      - 0
    .max_flat_workgroup_size: 1024
    .name:           _ZN4vllm21deepseek_v4_fused_ops30fusedDeepseekV4FullCacheKernelIN3c108BFloat16ELb1ELb1EEEvPT_PhllPKS4_S6_PKlSA_PKfSC_SC_fiiiill
    .private_segment_fixed_size: 0
    .sgpr_count:     18
    .sgpr_spill_count: 0
    .symbol:         _ZN4vllm21deepseek_v4_fused_ops30fusedDeepseekV4FullCacheKernelIN3c108BFloat16ELb1ELb1EEEvPT_PhllPKS4_S6_PKlSA_PKfSC_SC_fiiiill.kd
    .uniform_work_group_size: 1
    .uses_dynamic_stack: false
    .vgpr_count:     54
    .vgpr_spill_count: 0
    .wavefront_size: 32
    .workgroup_processor_mode: 1
amdhsa.target:   amdgcn-amd-amdhsa--gfx1100
amdhsa.version:
  - 1
  - 2
...

	.end_amdgpu_metadata
